;; amdgpu-corpus repo=ROCm/rocFFT kind=compiled arch=gfx1100 opt=O3
	.text
	.amdgcn_target "amdgcn-amd-amdhsa--gfx1100"
	.amdhsa_code_object_version 6
	.protected	bluestein_single_back_len507_dim1_dp_op_CI_CI ; -- Begin function bluestein_single_back_len507_dim1_dp_op_CI_CI
	.globl	bluestein_single_back_len507_dim1_dp_op_CI_CI
	.p2align	8
	.type	bluestein_single_back_len507_dim1_dp_op_CI_CI,@function
bluestein_single_back_len507_dim1_dp_op_CI_CI: ; @bluestein_single_back_len507_dim1_dp_op_CI_CI
; %bb.0:
	s_load_b128 s[16:19], s[0:1], 0x28
	v_mul_u32_u24_e32 v1, 0x691, v0
	s_mov_b32 s2, exec_lo
	s_delay_alu instid0(VALU_DEP_1) | instskip(NEXT) | instid1(VALU_DEP_1)
	v_lshrrev_b32_e32 v1, 16, v1
	v_mad_u64_u32 v[200:201], null, s15, 3, v[1:2]
	v_mov_b32_e32 v201, 0
                                        ; kill: def $vgpr2 killed $sgpr0 killed $exec
	s_waitcnt lgkmcnt(0)
	s_delay_alu instid0(VALU_DEP_1)
	v_cmpx_gt_u64_e64 s[16:17], v[200:201]
	s_cbranch_execz .LBB0_10
; %bb.1:
	s_clause 0x1
	s_load_b128 s[4:7], s[0:1], 0x18
	s_load_b128 s[8:11], s[0:1], 0x0
	v_mul_lo_u16 v1, v1, 39
	s_mov_b32 s26, 0x42a4c3d2
	s_mov_b32 s24, 0x66966769
	;; [unrolled: 1-line block ×4, first 2 shown]
	v_sub_nc_u16 v8, v0, v1
	s_mov_b32 s31, 0xbfddbe06
	s_mov_b32 s30, 0x4267c47c
	;; [unrolled: 1-line block ×4, first 2 shown]
	v_and_b32_e32 v225, 0xffff, v8
	s_mov_b32 s23, 0xbfedeba7
	s_mov_b32 s21, 0xbfe5384d
	;; [unrolled: 1-line block ×4, first 2 shown]
	v_lshlrev_b32_e32 v23, 4, v225
	s_mov_b32 s29, 0x3fec55a7
	s_mov_b32 s17, 0x3fbedb7d
	s_waitcnt lgkmcnt(0)
	s_load_b128 s[12:15], s[4:5], 0x0
	s_mov_b32 s37, 0x3fe5384d
	s_mov_b32 s36, s20
	;; [unrolled: 1-line block ×6, first 2 shown]
	s_waitcnt lgkmcnt(0)
	v_mad_u64_u32 v[0:1], null, s14, v200, 0
	v_mad_u64_u32 v[2:3], null, s12, v225, 0
	s_mul_i32 s2, s13, 0x270
	s_mul_hi_u32 s4, s12, 0x270
	s_mul_i32 s3, s12, 0x270
	s_add_i32 s2, s4, s2
	v_add_co_u32 v222, s4, s8, v23
	s_delay_alu instid0(VALU_DEP_2) | instskip(SKIP_2) | instid1(VALU_DEP_1)
	v_mad_u64_u32 v[4:5], null, s15, v200, v[1:2]
	s_mov_b32 s14, 0x4bc48dbf
	s_mov_b32 s15, 0xbfcea1e5
	v_mad_u64_u32 v[5:6], null, s13, v225, v[3:4]
	v_mov_b32_e32 v1, v4
	s_mov_b32 s12, 0xb2365da1
	s_mov_b32 s13, 0xbfd6b1d8
	s_delay_alu instid0(VALU_DEP_1) | instskip(NEXT) | instid1(VALU_DEP_3)
	v_lshlrev_b64 v[0:1], 4, v[0:1]
	v_mov_b32_e32 v3, v5
	s_delay_alu instid0(VALU_DEP_2) | instskip(NEXT) | instid1(VALU_DEP_2)
	v_add_co_u32 v0, vcc_lo, s18, v0
	v_lshlrev_b64 v[2:3], 4, v[2:3]
	s_delay_alu instid0(VALU_DEP_4) | instskip(SKIP_2) | instid1(VALU_DEP_2)
	v_add_co_ci_u32_e32 v1, vcc_lo, s19, v1, vcc_lo
	s_mov_b32 s18, 0x1ea71119
	s_mov_b32 s19, 0x3fe22d96
	v_add_co_u32 v4, vcc_lo, v0, v2
	s_delay_alu instid0(VALU_DEP_2) | instskip(NEXT) | instid1(VALU_DEP_2)
	v_add_co_ci_u32_e32 v5, vcc_lo, v1, v3, vcc_lo
	v_add_co_u32 v9, vcc_lo, v4, s3
	s_delay_alu instid0(VALU_DEP_2)
	v_add_co_ci_u32_e32 v10, vcc_lo, s2, v5, vcc_lo
	global_load_b128 v[0:3], v[4:5], off
	s_clause 0x1
	global_load_b128 v[28:31], v23, s[8:9]
	global_load_b128 v[24:27], v23, s[8:9] offset:624
	global_load_b128 v[4:7], v[9:10], off
	v_add_co_u32 v13, vcc_lo, v9, s3
	v_add_co_ci_u32_e32 v14, vcc_lo, s2, v10, vcc_lo
	global_load_b128 v[9:12], v[13:14], off
	global_load_b128 v[32:35], v23, s[8:9] offset:1248
	s_waitcnt vmcnt(4)
	scratch_store_b128 off, v[28:31], off offset:20 ; 16-byte Folded Spill
	s_waitcnt vmcnt(3)
	scratch_store_b128 off, v[24:27], off offset:4 ; 16-byte Folded Spill
	v_mul_f64 v[15:16], v[2:3], v[30:31]
	s_waitcnt vmcnt(2)
	v_mul_f64 v[19:20], v[6:7], v[26:27]
	v_mul_f64 v[17:18], v[0:1], v[30:31]
	v_mul_f64 v[21:22], v[4:5], v[26:27]
	s_delay_alu instid0(VALU_DEP_4)
	v_fma_f64 v[0:1], v[0:1], v[28:29], v[15:16]
	s_waitcnt vmcnt(0)
	v_mul_f64 v[15:16], v[11:12], v[34:35]
	v_fma_f64 v[4:5], v[4:5], v[24:25], v[19:20]
	v_add_co_u32 v19, vcc_lo, v13, s3
	v_add_co_ci_u32_e32 v20, vcc_lo, s2, v14, vcc_lo
	v_fma_f64 v[2:3], v[2:3], v[28:29], -v[17:18]
	global_load_b128 v[28:31], v23, s[8:9] offset:1872
	v_mul_f64 v[17:18], v[9:10], v[34:35]
	v_fma_f64 v[6:7], v[6:7], v[24:25], -v[21:22]
	scratch_store_b128 off, v[32:35], off offset:36 ; 16-byte Folded Spill
	v_fma_f64 v[9:10], v[9:10], v[32:33], v[15:16]
	global_load_b128 v[13:16], v[19:20], off
	v_fma_f64 v[11:12], v[11:12], v[32:33], -v[17:18]
	v_add_co_u32 v17, vcc_lo, v19, s3
	v_add_co_ci_u32_e32 v18, vcc_lo, s2, v20, vcc_lo
	global_load_b128 v[24:27], v[17:18], off
	v_add_co_u32 v17, vcc_lo, v17, s3
	v_add_co_ci_u32_e32 v18, vcc_lo, s2, v18, vcc_lo
	s_waitcnt vmcnt(2)
	scratch_store_b128 off, v[28:31], off offset:56 ; 16-byte Folded Spill
	s_waitcnt vmcnt(1)
	v_mul_f64 v[19:20], v[15:16], v[30:31]
	v_mul_f64 v[21:22], v[13:14], v[30:31]
	s_delay_alu instid0(VALU_DEP_2) | instskip(NEXT) | instid1(VALU_DEP_2)
	v_fma_f64 v[13:14], v[13:14], v[28:29], v[19:20]
	v_fma_f64 v[15:16], v[15:16], v[28:29], -v[21:22]
	s_clause 0x1
	global_load_b128 v[28:31], v23, s[8:9] offset:2496
	global_load_b128 v[32:35], v23, s[8:9] offset:3120
	s_waitcnt vmcnt(1)
	v_mul_f64 v[19:20], v[26:27], v[30:31]
	v_mul_f64 v[21:22], v[24:25], v[30:31]
	scratch_store_b128 off, v[28:31], off offset:72 ; 16-byte Folded Spill
	s_waitcnt vmcnt(0)
	scratch_store_b128 off, v[32:35], off offset:88 ; 16-byte Folded Spill
	v_fma_f64 v[52:53], v[24:25], v[28:29], v[19:20]
	v_fma_f64 v[54:55], v[26:27], v[28:29], -v[21:22]
	global_load_b128 v[24:27], v[17:18], off
	v_add_co_u32 v17, vcc_lo, v17, s3
	v_add_co_ci_u32_e32 v18, vcc_lo, s2, v18, vcc_lo
	s_waitcnt vmcnt(0)
	v_mul_f64 v[19:20], v[26:27], v[34:35]
	v_mul_f64 v[21:22], v[24:25], v[34:35]
	s_delay_alu instid0(VALU_DEP_2) | instskip(NEXT) | instid1(VALU_DEP_2)
	v_fma_f64 v[56:57], v[24:25], v[32:33], v[19:20]
	v_fma_f64 v[58:59], v[26:27], v[32:33], -v[21:22]
	global_load_b128 v[24:27], v23, s[8:9] offset:3744
	global_load_b128 v[28:31], v[17:18], off
	v_add_co_u32 v17, vcc_lo, v17, s3
	v_add_co_ci_u32_e32 v18, vcc_lo, s2, v18, vcc_lo
	v_add_co_u32 v152, vcc_lo, 0x1000, v222
	s_waitcnt vmcnt(0)
	v_mul_f64 v[19:20], v[30:31], v[26:27]
	v_mul_f64 v[21:22], v[28:29], v[26:27]
	s_delay_alu instid0(VALU_DEP_2)
	v_fma_f64 v[60:61], v[28:29], v[24:25], v[19:20]
	v_add_co_ci_u32_e64 v19, null, s9, 0, s4
	scratch_store_b128 off, v[24:27], off offset:104 ; 16-byte Folded Spill
	v_fma_f64 v[62:63], v[30:31], v[24:25], -v[21:22]
	s_mov_b32 s8, 0xd0032e0c
	scratch_store_b32 off, v19, off offset:188 ; 4-byte Folded Spill
	v_add_co_ci_u32_e32 v153, vcc_lo, 0, v19, vcc_lo
	global_load_b128 v[36:39], v[17:18], off
	s_clause 0x1
	global_load_b128 v[24:27], v[152:153], off offset:272
	global_load_b128 v[28:31], v[152:153], off offset:896
	v_add_co_u32 v17, vcc_lo, v17, s3
	v_add_co_ci_u32_e32 v18, vcc_lo, s2, v18, vcc_lo
	s_mov_b32 s9, 0xbfe7f3cc
	s_waitcnt vmcnt(1)
	v_mul_f64 v[19:20], v[38:39], v[26:27]
	v_mul_f64 v[21:22], v[36:37], v[26:27]
	scratch_store_b128 off, v[24:27], off offset:120 ; 16-byte Folded Spill
	s_waitcnt vmcnt(0)
	scratch_store_b128 off, v[28:31], off offset:136 ; 16-byte Folded Spill
	v_fma_f64 v[64:65], v[36:37], v[24:25], v[19:20]
	v_fma_f64 v[66:67], v[38:39], v[24:25], -v[21:22]
	global_load_b128 v[36:39], v[17:18], off
	v_add_co_u32 v17, vcc_lo, v17, s3
	v_add_co_ci_u32_e32 v18, vcc_lo, s2, v18, vcc_lo
	global_load_b128 v[44:47], v[17:18], off
	s_clause 0x1
	global_load_b128 v[24:27], v[152:153], off offset:1520
	global_load_b128 v[40:43], v[152:153], off offset:2144
	v_add_co_u32 v17, vcc_lo, v17, s3
	v_add_co_ci_u32_e32 v18, vcc_lo, s2, v18, vcc_lo
	s_waitcnt vmcnt(3)
	v_mul_f64 v[19:20], v[38:39], v[30:31]
	v_mul_f64 v[21:22], v[36:37], v[30:31]
	s_waitcnt vmcnt(1)
	scratch_store_b128 off, v[24:27], off offset:152 ; 16-byte Folded Spill
	v_fma_f64 v[68:69], v[36:37], v[28:29], v[19:20]
	v_fma_f64 v[70:71], v[38:39], v[28:29], -v[21:22]
	v_mul_f64 v[19:20], v[46:47], v[26:27]
	v_mul_f64 v[21:22], v[44:45], v[26:27]
	s_delay_alu instid0(VALU_DEP_2) | instskip(NEXT) | instid1(VALU_DEP_2)
	v_fma_f64 v[72:73], v[44:45], v[24:25], v[19:20]
	v_fma_f64 v[74:75], v[46:47], v[24:25], -v[21:22]
	global_load_b128 v[44:47], v[17:18], off
	v_add_co_u32 v17, vcc_lo, v17, s3
	v_add_co_ci_u32_e32 v18, vcc_lo, s2, v18, vcc_lo
	s_waitcnt vmcnt(0)
	v_mul_f64 v[19:20], v[46:47], v[42:43]
	v_mul_f64 v[21:22], v[44:45], v[42:43]
	s_delay_alu instid0(VALU_DEP_2) | instskip(NEXT) | instid1(VALU_DEP_2)
	v_fma_f64 v[76:77], v[44:45], v[40:41], v[19:20]
	v_fma_f64 v[78:79], v[46:47], v[40:41], -v[21:22]
	global_load_b128 v[80:83], v[17:18], off
	s_clause 0x1
	global_load_b128 v[44:47], v[152:153], off offset:2768
	global_load_b128 v[48:51], v[152:153], off offset:3392
	v_add_co_u32 v17, vcc_lo, v17, s3
	v_add_co_ci_u32_e32 v18, vcc_lo, s2, v18, vcc_lo
	s_mov_b32 s2, 0x93053d00
	s_mov_b32 s3, 0xbfef11f4
	v_cmp_gt_u16_e32 vcc_lo, 13, v8
	global_load_b128 v[84:87], v[17:18], off
	s_waitcnt vmcnt(2)
	v_mul_f64 v[19:20], v[82:83], v[46:47]
	v_mul_f64 v[21:22], v[80:81], v[46:47]
	s_waitcnt vmcnt(0)
	v_mul_f64 v[17:18], v[86:87], v[50:51]
	s_delay_alu instid0(VALU_DEP_3) | instskip(SKIP_1) | instid1(VALU_DEP_4)
	v_fma_f64 v[80:81], v[80:81], v[44:45], v[19:20]
	v_mul_f64 v[19:20], v[84:85], v[50:51]
	v_fma_f64 v[82:83], v[82:83], v[44:45], -v[21:22]
	s_delay_alu instid0(VALU_DEP_4) | instskip(SKIP_1) | instid1(VALU_DEP_1)
	v_fma_f64 v[84:85], v[84:85], v[48:49], v[17:18]
	v_mul_hi_u32 v17, 0xaaaaaaab, v200
	v_lshrrev_b32_e32 v17, 1, v17
	s_delay_alu instid0(VALU_DEP_1) | instskip(NEXT) | instid1(VALU_DEP_1)
	v_lshl_add_u32 v17, v17, 1, v17
	v_sub_nc_u32_e32 v17, v200, v17
	s_delay_alu instid0(VALU_DEP_1) | instskip(NEXT) | instid1(VALU_DEP_1)
	v_mul_u32_u24_e32 v17, 0x1fb, v17
	v_lshlrev_b32_e32 v27, 4, v17
	v_fma_f64 v[86:87], v[86:87], v[48:49], -v[19:20]
	s_delay_alu instid0(VALU_DEP_2)
	v_add_nc_u32_e32 v255, v23, v27
	ds_store_b128 v255, v[0:3]
	ds_store_b128 v255, v[4:7] offset:624
	ds_store_b128 v255, v[9:12] offset:1248
	;; [unrolled: 1-line block ×12, first 2 shown]
	s_load_b128 s[4:7], s[6:7], 0x0
	s_waitcnt lgkmcnt(0)
	s_waitcnt_vscnt null, 0x0
	s_barrier
	buffer_gl0_inv
	ds_load_b128 v[52:55], v255
	ds_load_b128 v[56:59], v255 offset:624
	ds_load_b128 v[60:63], v255 offset:1248
	;; [unrolled: 1-line block ×7, first 2 shown]
	s_waitcnt lgkmcnt(6)
	v_add_f64 v[0:1], v[52:53], v[56:57]
	v_add_f64 v[2:3], v[54:55], v[58:59]
	s_waitcnt lgkmcnt(0)
	v_add_f64 v[76:77], v[4:5], -v[9:10]
	v_add_f64 v[78:79], v[6:7], -v[11:12]
	s_delay_alu instid0(VALU_DEP_4) | instskip(NEXT) | instid1(VALU_DEP_4)
	v_add_f64 v[0:1], v[0:1], v[60:61]
	v_add_f64 v[2:3], v[2:3], v[62:63]
	s_delay_alu instid0(VALU_DEP_4) | instskip(NEXT) | instid1(VALU_DEP_4)
	v_mul_f64 v[168:169], v[76:77], s[20:21]
	v_mul_f64 v[166:167], v[78:79], s[20:21]
	;; [unrolled: 1-line block ×4, first 2 shown]
	v_add_f64 v[0:1], v[0:1], v[64:65]
	v_add_f64 v[2:3], v[2:3], v[66:67]
	s_delay_alu instid0(VALU_DEP_2) | instskip(NEXT) | instid1(VALU_DEP_2)
	v_add_f64 v[0:1], v[0:1], v[68:69]
	v_add_f64 v[2:3], v[2:3], v[70:71]
	s_delay_alu instid0(VALU_DEP_2) | instskip(NEXT) | instid1(VALU_DEP_2)
	;; [unrolled: 3-line block ×3, first 2 shown]
	v_add_f64 v[13:14], v[0:1], v[4:5]
	v_add_f64 v[15:16], v[2:3], v[6:7]
	;; [unrolled: 1-line block ×4, first 2 shown]
	s_delay_alu instid0(VALU_DEP_4) | instskip(NEXT) | instid1(VALU_DEP_4)
	v_add_f64 v[17:18], v[13:14], v[9:10]
	v_add_f64 v[19:20], v[15:16], v[11:12]
	ds_load_b128 v[9:12], v255 offset:4992
	ds_load_b128 v[13:16], v255 offset:5616
	s_waitcnt lgkmcnt(1)
	v_add_f64 v[4:5], v[72:73], v[9:10]
	v_add_f64 v[6:7], v[74:75], v[11:12]
	v_add_f64 v[80:81], v[72:73], -v[9:10]
	v_add_f64 v[82:83], v[74:75], -v[11:12]
	s_waitcnt lgkmcnt(0)
	v_add_f64 v[72:73], v[68:69], v[13:14]
	v_add_f64 v[74:75], v[70:71], v[15:16]
	v_add_f64 v[68:69], v[68:69], -v[13:14]
	v_add_f64 v[70:71], v[70:71], -v[15:16]
	v_add_f64 v[9:10], v[17:18], v[9:10]
	v_add_f64 v[11:12], v[19:20], v[11:12]
	v_mul_f64 v[142:143], v[80:81], s[34:35]
	v_mul_f64 v[140:141], v[82:83], s[34:35]
	;; [unrolled: 1-line block ×8, first 2 shown]
	v_add_f64 v[17:18], v[9:10], v[13:14]
	v_add_f64 v[19:20], v[11:12], v[15:16]
	ds_load_b128 v[9:12], v255 offset:6240
	ds_load_b128 v[13:16], v255 offset:6864
	scratch_store_b32 off, v27, off         ; 4-byte Folded Spill
	s_waitcnt lgkmcnt(1)
	v_add_f64 v[21:22], v[64:65], v[9:10]
	v_add_f64 v[23:24], v[66:67], v[11:12]
	v_add_f64 v[25:26], v[64:65], -v[9:10]
	v_add_f64 v[108:109], v[66:67], -v[11:12]
	v_add_f64 v[9:10], v[17:18], v[9:10]
	v_add_f64 v[11:12], v[19:20], v[11:12]
	s_waitcnt lgkmcnt(0)
	v_add_f64 v[17:18], v[60:61], -v[13:14]
	v_add_f64 v[19:20], v[62:63], -v[15:16]
	v_add_f64 v[60:61], v[60:61], v[13:14]
	v_add_f64 v[62:63], v[62:63], v[15:16]
	v_mul_f64 v[134:135], v[25:26], s[14:15]
	v_mul_f64 v[132:133], v[108:109], s[14:15]
	;; [unrolled: 1-line block ×4, first 2 shown]
	s_mov_b32 s39, 0x3fea55e2
	s_mov_b32 s38, s26
	v_mul_f64 v[192:193], v[25:26], s[26:27]
	v_mul_f64 v[186:187], v[78:79], s[38:39]
	;; [unrolled: 1-line block ×3, first 2 shown]
	v_add_f64 v[13:14], v[9:10], v[13:14]
	v_add_f64 v[15:16], v[11:12], v[15:16]
	ds_load_b128 v[9:12], v255 offset:7488
	v_mul_f64 v[148:149], v[19:20], s[14:15]
	v_mul_f64 v[150:151], v[17:18], s[14:15]
	;; [unrolled: 1-line block ×4, first 2 shown]
	s_mov_b32 s37, 0x3fcea1e5
	s_mov_b32 s36, s14
	v_mul_f64 v[190:191], v[17:18], s[34:35]
	v_mul_f64 v[182:183], v[82:83], s[36:37]
	v_mul_f64 v[184:185], v[80:81], s[36:37]
	v_mul_f64 v[194:195], v[70:71], s[36:37]
	v_mul_f64 v[196:197], v[68:69], s[36:37]
	s_waitcnt lgkmcnt(0)
	s_waitcnt_vscnt null, 0x0
	s_barrier
	buffer_gl0_inv
	v_add_f64 v[64:65], v[58:59], -v[11:12]
	v_add_f64 v[66:67], v[56:57], -v[9:10]
	v_add_f64 v[56:57], v[56:57], v[9:10]
	v_add_f64 v[58:59], v[58:59], v[11:12]
	v_add_f64 v[9:10], v[13:14], v[9:10]
	v_add_f64 v[11:12], v[15:16], v[11:12]
	v_mul_f64 v[13:14], v[64:65], s[30:31]
	v_mul_f64 v[15:16], v[64:65], s[26:27]
	v_mul_f64 v[84:85], v[64:65], s[24:25]
	v_mul_f64 v[86:87], v[64:65], s[22:23]
	v_mul_f64 v[88:89], v[64:65], s[20:21]
	v_mul_f64 v[64:65], v[64:65], s[14:15]
	v_mul_f64 v[110:111], v[66:67], s[20:21]
	v_mul_f64 v[102:103], v[66:67], s[26:27]
	v_mul_f64 v[104:105], v[66:67], s[24:25]
	v_mul_f64 v[106:107], v[66:67], s[22:23]
	v_fma_f64 v[90:91], v[56:57], s[28:29], -v[13:14]
	v_fma_f64 v[13:14], v[56:57], s[28:29], v[13:14]
	v_fma_f64 v[92:93], v[56:57], s[18:19], -v[15:16]
	v_fma_f64 v[15:16], v[56:57], s[18:19], v[15:16]
	;; [unrolled: 2-line block ×6, first 2 shown]
	v_mul_f64 v[64:65], v[66:67], s[30:31]
	v_mul_f64 v[66:67], v[66:67], s[14:15]
	v_fma_f64 v[120:121], v[58:59], s[8:9], v[110:111]
	v_fma_f64 v[114:115], v[58:59], s[18:19], v[102:103]
	v_fma_f64 v[102:103], v[58:59], s[18:19], -v[102:103]
	v_fma_f64 v[116:117], v[58:59], s[16:17], v[104:105]
	v_fma_f64 v[104:105], v[58:59], s[16:17], -v[104:105]
	;; [unrolled: 2-line block ×3, first 2 shown]
	v_fma_f64 v[110:111], v[58:59], s[8:9], -v[110:111]
	s_mov_b32 s31, 0x3fddbe06
	s_delay_alu instid0(SALU_CYCLE_1)
	v_mul_f64 v[144:145], v[78:79], s[30:31]
	v_mul_f64 v[146:147], v[76:77], s[30:31]
	;; [unrolled: 1-line block ×8, first 2 shown]
	v_add_f64 v[124:125], v[52:53], v[90:91]
	v_add_f64 v[126:127], v[52:53], v[13:14]
	v_add_f64 v[13:14], v[52:53], v[92:93]
	v_fma_f64 v[112:113], v[58:59], s[28:29], v[64:65]
	v_fma_f64 v[64:65], v[58:59], s[28:29], -v[64:65]
	v_fma_f64 v[122:123], v[58:59], s[2:3], v[66:67]
	v_fma_f64 v[58:59], v[58:59], s[2:3], -v[66:67]
	v_add_f64 v[66:67], v[52:53], v[94:95]
	v_add_f64 v[94:95], v[54:55], v[120:121]
	v_mul_f64 v[120:121], v[19:20], s[22:23]
	v_add_f64 v[130:131], v[54:55], v[102:103]
	v_add_f64 v[102:103], v[52:53], v[84:85]
	;; [unrolled: 1-line block ×13, first 2 shown]
	v_fma_f64 v[56:57], v[21:22], s[12:13], -v[154:155]
	v_add_f64 v[112:113], v[54:55], v[112:113]
	v_add_f64 v[128:129], v[54:55], v[64:65]
	;; [unrolled: 1-line block ×5, first 2 shown]
	v_mul_f64 v[122:123], v[17:18], s[22:23]
	v_fma_f64 v[15:16], v[60:61], s[12:13], -v[120:121]
	v_fma_f64 v[52:53], v[21:22], s[2:3], -v[132:133]
	v_add_f64 v[118:119], v[54:55], v[58:59]
	v_fma_f64 v[54:55], v[62:63], s[2:3], v[150:151]
	v_fma_f64 v[58:59], v[62:63], s[8:9], v[172:173]
	v_add_f64 v[13:14], v[15:16], v[13:14]
	v_fma_f64 v[15:16], v[62:63], s[12:13], v[122:123]
	s_delay_alu instid0(VALU_DEP_4) | instskip(NEXT) | instid1(VALU_DEP_4)
	v_add_f64 v[54:55], v[54:55], v[90:91]
	v_add_f64 v[58:59], v[58:59], v[92:93]
	v_mul_f64 v[92:93], v[19:20], s[34:35]
	v_mul_f64 v[90:91], v[19:20], s[30:31]
	;; [unrolled: 1-line block ×3, first 2 shown]
	v_add_f64 v[13:14], v[52:53], v[13:14]
	v_add_f64 v[15:16], v[15:16], v[64:65]
	v_fma_f64 v[52:53], v[23:24], s[2:3], v[134:135]
	v_fma_f64 v[64:65], v[21:22], s[28:29], -v[174:175]
	s_delay_alu instid0(VALU_DEP_2) | instskip(SKIP_1) | instid1(VALU_DEP_1)
	v_add_f64 v[15:16], v[52:53], v[15:16]
	v_fma_f64 v[52:53], v[72:73], s[8:9], -v[136:137]
	v_add_f64 v[13:14], v[52:53], v[13:14]
	v_fma_f64 v[52:53], v[74:75], s[8:9], v[138:139]
	s_delay_alu instid0(VALU_DEP_1) | instskip(SKIP_1) | instid1(VALU_DEP_1)
	v_add_f64 v[15:16], v[52:53], v[15:16]
	v_fma_f64 v[52:53], v[4:5], s[16:17], -v[140:141]
	v_add_f64 v[13:14], v[52:53], v[13:14]
	v_fma_f64 v[52:53], v[6:7], s[16:17], v[142:143]
	s_delay_alu instid0(VALU_DEP_1) | instskip(SKIP_1) | instid1(VALU_DEP_1)
	;; [unrolled: 5-line block ×3, first 2 shown]
	v_add_f64 v[15:16], v[52:53], v[15:16]
	v_fma_f64 v[52:53], v[60:61], s[2:3], -v[148:149]
	v_add_f64 v[52:53], v[52:53], v[66:67]
	v_fma_f64 v[66:67], v[62:63], s[16:17], v[190:191]
	s_delay_alu instid0(VALU_DEP_2) | instskip(SKIP_1) | instid1(VALU_DEP_3)
	v_add_f64 v[52:53], v[56:57], v[52:53]
	v_fma_f64 v[56:57], v[23:24], s[12:13], v[156:157]
	v_add_f64 v[66:67], v[66:67], v[94:95]
	v_mul_f64 v[94:95], v[108:109], s[26:27]
	s_delay_alu instid0(VALU_DEP_3) | instskip(SKIP_1) | instid1(VALU_DEP_1)
	v_add_f64 v[54:55], v[56:57], v[54:55]
	v_fma_f64 v[56:57], v[72:73], s[28:29], -v[158:159]
	v_add_f64 v[52:53], v[56:57], v[52:53]
	v_fma_f64 v[56:57], v[74:75], s[28:29], v[160:161]
	s_delay_alu instid0(VALU_DEP_1) | instskip(SKIP_1) | instid1(VALU_DEP_1)
	v_add_f64 v[54:55], v[56:57], v[54:55]
	v_fma_f64 v[56:57], v[4:5], s[18:19], -v[162:163]
	v_add_f64 v[52:53], v[56:57], v[52:53]
	v_fma_f64 v[56:57], v[6:7], s[18:19], v[164:165]
	s_delay_alu instid0(VALU_DEP_1) | instskip(SKIP_1) | instid1(VALU_DEP_1)
	;; [unrolled: 5-line block ×3, first 2 shown]
	v_add_f64 v[54:55], v[56:57], v[54:55]
	v_fma_f64 v[56:57], v[60:61], s[8:9], -v[170:171]
	v_add_f64 v[56:57], v[56:57], v[84:85]
	v_fma_f64 v[84:85], v[21:22], s[18:19], -v[94:95]
	v_fma_f64 v[94:95], v[21:22], s[18:19], v[94:95]
	s_delay_alu instid0(VALU_DEP_3) | instskip(SKIP_1) | instid1(VALU_DEP_1)
	v_add_f64 v[56:57], v[64:65], v[56:57]
	v_fma_f64 v[64:65], v[23:24], s[28:29], v[176:177]
	v_add_f64 v[58:59], v[64:65], v[58:59]
	v_fma_f64 v[64:65], v[72:73], s[16:17], -v[178:179]
	s_delay_alu instid0(VALU_DEP_1) | instskip(SKIP_1) | instid1(VALU_DEP_1)
	v_add_f64 v[56:57], v[64:65], v[56:57]
	v_fma_f64 v[64:65], v[74:75], s[16:17], v[180:181]
	v_add_f64 v[58:59], v[64:65], v[58:59]
	v_fma_f64 v[64:65], v[4:5], s[2:3], -v[182:183]
	s_delay_alu instid0(VALU_DEP_1) | instskip(SKIP_1) | instid1(VALU_DEP_1)
	;; [unrolled: 5-line block ×3, first 2 shown]
	v_add_f64 v[56:57], v[64:65], v[56:57]
	v_fma_f64 v[64:65], v[2:3], s[18:19], v[188:189]
	v_add_f64 v[58:59], v[64:65], v[58:59]
	v_fma_f64 v[64:65], v[60:61], s[16:17], -v[92:93]
	v_fma_f64 v[92:93], v[60:61], s[16:17], v[92:93]
	s_delay_alu instid0(VALU_DEP_2) | instskip(NEXT) | instid1(VALU_DEP_2)
	v_add_f64 v[64:65], v[64:65], v[86:87]
	v_add_f64 v[92:93], v[92:93], v[98:99]
	v_fma_f64 v[98:99], v[62:63], s[16:17], -v[190:191]
	s_delay_alu instid0(VALU_DEP_3) | instskip(SKIP_1) | instid1(VALU_DEP_3)
	v_add_f64 v[64:65], v[84:85], v[64:65]
	v_fma_f64 v[84:85], v[23:24], s[18:19], v[192:193]
	v_add_f64 v[98:99], v[98:99], v[110:111]
	v_add_f64 v[92:93], v[94:95], v[92:93]
	v_fma_f64 v[94:95], v[23:24], s[18:19], -v[192:193]
	v_fma_f64 v[110:111], v[21:22], s[2:3], v[132:133]
	v_add_f64 v[66:67], v[84:85], v[66:67]
	v_fma_f64 v[84:85], v[72:73], s[2:3], -v[194:195]
	s_delay_alu instid0(VALU_DEP_4) | instskip(SKIP_1) | instid1(VALU_DEP_3)
	v_add_f64 v[94:95], v[94:95], v[98:99]
	v_fma_f64 v[98:99], v[72:73], s[2:3], v[194:195]
	v_add_f64 v[64:65], v[84:85], v[64:65]
	v_fma_f64 v[84:85], v[74:75], s[2:3], v[196:197]
	s_delay_alu instid0(VALU_DEP_3) | instskip(SKIP_1) | instid1(VALU_DEP_3)
	v_add_f64 v[92:93], v[98:99], v[92:93]
	v_fma_f64 v[98:99], v[74:75], s[2:3], -v[196:197]
	v_add_f64 v[66:67], v[84:85], v[66:67]
	v_fma_f64 v[84:85], v[4:5], s[28:29], -v[198:199]
	s_delay_alu instid0(VALU_DEP_3) | instskip(SKIP_1) | instid1(VALU_DEP_3)
	v_add_f64 v[94:95], v[98:99], v[94:95]
	v_fma_f64 v[98:99], v[4:5], s[28:29], v[198:199]
	v_add_f64 v[64:65], v[84:85], v[64:65]
	v_fma_f64 v[84:85], v[6:7], s[28:29], v[201:202]
	s_delay_alu instid0(VALU_DEP_3) | instskip(SKIP_1) | instid1(VALU_DEP_3)
	v_add_f64 v[92:93], v[98:99], v[92:93]
	v_fma_f64 v[98:99], v[6:7], s[28:29], -v[201:202]
	v_add_f64 v[66:67], v[84:85], v[66:67]
	v_fma_f64 v[84:85], v[0:1], s[12:13], -v[203:204]
	s_delay_alu instid0(VALU_DEP_3) | instskip(SKIP_1) | instid1(VALU_DEP_3)
	v_add_f64 v[94:95], v[98:99], v[94:95]
	v_fma_f64 v[98:99], v[0:1], s[12:13], v[203:204]
	v_add_f64 v[64:65], v[84:85], v[64:65]
	v_fma_f64 v[84:85], v[2:3], s[12:13], v[205:206]
	s_delay_alu instid0(VALU_DEP_3) | instskip(SKIP_1) | instid1(VALU_DEP_3)
	v_add_f64 v[92:93], v[98:99], v[92:93]
	v_fma_f64 v[98:99], v[60:61], s[8:9], v[170:171]
	v_add_f64 v[66:67], v[84:85], v[66:67]
	v_fma_f64 v[84:85], v[60:61], s[28:29], -v[90:91]
	v_fma_f64 v[90:91], v[60:61], s[28:29], v[90:91]
	s_delay_alu instid0(VALU_DEP_4) | instskip(SKIP_1) | instid1(VALU_DEP_4)
	v_add_f64 v[96:97], v[98:99], v[96:97]
	v_fma_f64 v[98:99], v[62:63], s[8:9], -v[172:173]
	v_add_f64 v[84:85], v[84:85], v[88:89]
	v_mul_f64 v[88:89], v[17:18], s[30:31]
	v_add_f64 v[90:91], v[90:91], v[116:117]
	s_delay_alu instid0(VALU_DEP_4) | instskip(SKIP_4) | instid1(VALU_DEP_2)
	v_add_f64 v[98:99], v[98:99], v[106:107]
	v_fma_f64 v[106:107], v[2:3], s[18:19], -v[188:189]
	v_mul_f64 v[17:18], v[17:18], s[26:27]
	v_fma_f64 v[86:87], v[62:63], s[28:29], v[88:89]
	v_fma_f64 v[88:89], v[62:63], s[28:29], -v[88:89]
	v_add_f64 v[86:87], v[86:87], v[100:101]
	v_mul_f64 v[100:101], v[108:109], s[20:21]
	s_delay_alu instid0(VALU_DEP_3) | instskip(SKIP_1) | instid1(VALU_DEP_3)
	v_add_f64 v[88:89], v[88:89], v[118:119]
	v_mul_f64 v[108:109], v[108:109], s[24:25]
	v_fma_f64 v[207:208], v[21:22], s[8:9], -v[100:101]
	v_fma_f64 v[100:101], v[21:22], s[8:9], v[100:101]
	s_delay_alu instid0(VALU_DEP_2) | instskip(SKIP_1) | instid1(VALU_DEP_3)
	v_add_f64 v[84:85], v[207:208], v[84:85]
	v_mul_f64 v[207:208], v[25:26], s[20:21]
	v_add_f64 v[90:91], v[100:101], v[90:91]
	v_mul_f64 v[25:26], v[25:26], s[24:25]
	s_delay_alu instid0(VALU_DEP_3) | instskip(SKIP_1) | instid1(VALU_DEP_2)
	v_fma_f64 v[209:210], v[23:24], s[8:9], v[207:208]
	v_fma_f64 v[100:101], v[23:24], s[8:9], -v[207:208]
	v_add_f64 v[86:87], v[209:210], v[86:87]
	v_mul_f64 v[209:210], v[70:71], s[38:39]
	s_delay_alu instid0(VALU_DEP_3) | instskip(NEXT) | instid1(VALU_DEP_2)
	v_add_f64 v[88:89], v[100:101], v[88:89]
	v_fma_f64 v[211:212], v[72:73], s[18:19], -v[209:210]
	v_fma_f64 v[100:101], v[72:73], s[18:19], v[209:210]
	s_delay_alu instid0(VALU_DEP_2) | instskip(SKIP_1) | instid1(VALU_DEP_3)
	v_add_f64 v[84:85], v[211:212], v[84:85]
	v_mul_f64 v[211:212], v[68:69], s[38:39]
	v_add_f64 v[90:91], v[100:101], v[90:91]
	s_delay_alu instid0(VALU_DEP_2) | instskip(SKIP_1) | instid1(VALU_DEP_2)
	v_fma_f64 v[213:214], v[74:75], s[18:19], v[211:212]
	v_fma_f64 v[100:101], v[74:75], s[18:19], -v[211:212]
	v_add_f64 v[86:87], v[213:214], v[86:87]
	v_mul_f64 v[213:214], v[82:83], s[22:23]
	s_delay_alu instid0(VALU_DEP_3) | instskip(SKIP_1) | instid1(VALU_DEP_3)
	v_add_f64 v[88:89], v[100:101], v[88:89]
	v_mul_f64 v[82:83], v[82:83], s[20:21]
	v_fma_f64 v[215:216], v[4:5], s[12:13], -v[213:214]
	v_fma_f64 v[100:101], v[4:5], s[12:13], v[213:214]
	s_delay_alu instid0(VALU_DEP_2) | instskip(SKIP_1) | instid1(VALU_DEP_3)
	v_add_f64 v[84:85], v[215:216], v[84:85]
	v_mul_f64 v[215:216], v[80:81], s[22:23]
	v_add_f64 v[90:91], v[100:101], v[90:91]
	v_mul_f64 v[80:81], v[80:81], s[20:21]
	s_delay_alu instid0(VALU_DEP_3) | instskip(SKIP_1) | instid1(VALU_DEP_2)
	v_fma_f64 v[217:218], v[6:7], s[12:13], v[215:216]
	v_fma_f64 v[100:101], v[6:7], s[12:13], -v[215:216]
	v_add_f64 v[86:87], v[217:218], v[86:87]
	v_mul_f64 v[217:218], v[78:79], s[34:35]
	s_delay_alu instid0(VALU_DEP_3) | instskip(SKIP_1) | instid1(VALU_DEP_3)
	v_add_f64 v[100:101], v[100:101], v[88:89]
	v_mul_f64 v[78:79], v[78:79], s[14:15]
	v_fma_f64 v[219:220], v[0:1], s[16:17], -v[217:218]
	v_fma_f64 v[88:89], v[0:1], s[16:17], v[217:218]
	s_delay_alu instid0(VALU_DEP_2) | instskip(SKIP_1) | instid1(VALU_DEP_3)
	v_add_f64 v[84:85], v[219:220], v[84:85]
	v_mul_f64 v[219:220], v[76:77], s[34:35]
	v_add_f64 v[88:89], v[88:89], v[90:91]
	v_mul_f64 v[76:77], v[76:77], s[14:15]
	s_delay_alu instid0(VALU_DEP_3) | instskip(SKIP_1) | instid1(VALU_DEP_2)
	v_fma_f64 v[116:117], v[2:3], s[16:17], -v[219:220]
	v_fma_f64 v[223:224], v[2:3], s[16:17], v[219:220]
	v_add_f64 v[90:91], v[116:117], v[100:101]
	v_fma_f64 v[100:101], v[2:3], s[12:13], -v[205:206]
	s_delay_alu instid0(VALU_DEP_3) | instskip(NEXT) | instid1(VALU_DEP_2)
	v_add_f64 v[86:87], v[223:224], v[86:87]
	v_add_f64 v[94:95], v[100:101], v[94:95]
	v_fma_f64 v[100:101], v[21:22], s[28:29], v[174:175]
	s_delay_alu instid0(VALU_DEP_1) | instskip(SKIP_1) | instid1(VALU_DEP_1)
	v_add_f64 v[96:97], v[100:101], v[96:97]
	v_fma_f64 v[100:101], v[23:24], s[28:29], -v[176:177]
	v_add_f64 v[98:99], v[100:101], v[98:99]
	v_fma_f64 v[100:101], v[72:73], s[16:17], v[178:179]
	s_delay_alu instid0(VALU_DEP_1) | instskip(SKIP_1) | instid1(VALU_DEP_1)
	v_add_f64 v[96:97], v[100:101], v[96:97]
	v_fma_f64 v[100:101], v[74:75], s[16:17], -v[180:181]
	;; [unrolled: 5-line block ×3, first 2 shown]
	v_add_f64 v[98:99], v[100:101], v[98:99]
	v_fma_f64 v[100:101], v[0:1], s[18:19], v[186:187]
	s_delay_alu instid0(VALU_DEP_2) | instskip(NEXT) | instid1(VALU_DEP_2)
	v_add_f64 v[98:99], v[106:107], v[98:99]
	v_add_f64 v[96:97], v[100:101], v[96:97]
	v_fma_f64 v[100:101], v[60:61], s[2:3], v[148:149]
	v_fma_f64 v[106:107], v[2:3], s[8:9], -v[168:169]
                                        ; implicit-def: $vgpr148_vgpr149
	s_delay_alu instid0(VALU_DEP_2) | instskip(SKIP_1) | instid1(VALU_DEP_1)
	v_add_f64 v[100:101], v[100:101], v[102:103]
	v_fma_f64 v[102:103], v[62:63], s[2:3], -v[150:151]
	v_add_f64 v[102:103], v[102:103], v[104:105]
	v_fma_f64 v[104:105], v[21:22], s[12:13], v[154:155]
	s_delay_alu instid0(VALU_DEP_1) | instskip(SKIP_1) | instid1(VALU_DEP_1)
	v_add_f64 v[100:101], v[104:105], v[100:101]
	v_fma_f64 v[104:105], v[23:24], s[12:13], -v[156:157]
	v_add_f64 v[102:103], v[104:105], v[102:103]
	v_fma_f64 v[104:105], v[72:73], s[28:29], v[158:159]
	s_delay_alu instid0(VALU_DEP_1) | instskip(SKIP_1) | instid1(VALU_DEP_1)
	;; [unrolled: 5-line block ×3, first 2 shown]
	v_add_f64 v[100:101], v[104:105], v[100:101]
	v_fma_f64 v[104:105], v[6:7], s[18:19], -v[164:165]
	v_add_f64 v[102:103], v[104:105], v[102:103]
	v_fma_f64 v[104:105], v[0:1], s[8:9], v[166:167]
	s_delay_alu instid0(VALU_DEP_2) | instskip(NEXT) | instid1(VALU_DEP_2)
	v_add_f64 v[102:103], v[106:107], v[102:103]
	v_add_f64 v[100:101], v[104:105], v[100:101]
	v_fma_f64 v[104:105], v[60:61], s[12:13], v[120:121]
	v_fma_f64 v[106:107], v[62:63], s[12:13], -v[122:123]
	s_delay_alu instid0(VALU_DEP_2) | instskip(NEXT) | instid1(VALU_DEP_2)
	v_add_f64 v[104:105], v[104:105], v[114:115]
	v_add_f64 v[106:107], v[106:107], v[130:131]
	v_fma_f64 v[114:115], v[2:3], s[28:29], -v[146:147]
	s_delay_alu instid0(VALU_DEP_3) | instskip(SKIP_1) | instid1(VALU_DEP_1)
	v_add_f64 v[104:105], v[110:111], v[104:105]
	v_fma_f64 v[110:111], v[23:24], s[2:3], -v[134:135]
	v_add_f64 v[106:107], v[110:111], v[106:107]
	v_fma_f64 v[110:111], v[72:73], s[8:9], v[136:137]
	s_delay_alu instid0(VALU_DEP_1) | instskip(SKIP_1) | instid1(VALU_DEP_1)
	v_add_f64 v[104:105], v[110:111], v[104:105]
	v_fma_f64 v[110:111], v[74:75], s[8:9], -v[138:139]
	v_add_f64 v[106:107], v[110:111], v[106:107]
	v_fma_f64 v[110:111], v[4:5], s[16:17], v[140:141]
	s_delay_alu instid0(VALU_DEP_1) | instskip(SKIP_1) | instid1(VALU_DEP_1)
	v_add_f64 v[104:105], v[110:111], v[104:105]
	v_fma_f64 v[110:111], v[6:7], s[16:17], -v[142:143]
	v_add_f64 v[106:107], v[110:111], v[106:107]
	v_fma_f64 v[110:111], v[0:1], s[28:29], v[144:145]
                                        ; implicit-def: $vgpr144_vgpr145
	s_delay_alu instid0(VALU_DEP_2) | instskip(NEXT) | instid1(VALU_DEP_2)
	v_add_f64 v[106:107], v[114:115], v[106:107]
	v_add_f64 v[104:105], v[110:111], v[104:105]
	v_fma_f64 v[110:111], v[60:61], s[18:19], -v[19:20]
	v_fma_f64 v[114:115], v[62:63], s[18:19], v[17:18]
	v_fma_f64 v[19:20], v[60:61], s[18:19], v[19:20]
	v_fma_f64 v[17:18], v[62:63], s[18:19], -v[17:18]
	s_delay_alu instid0(VALU_DEP_4) | instskip(NEXT) | instid1(VALU_DEP_4)
	v_add_f64 v[110:111], v[110:111], v[124:125]
	v_add_f64 v[112:113], v[114:115], v[112:113]
	v_fma_f64 v[114:115], v[21:22], s[16:17], -v[108:109]
	v_fma_f64 v[21:22], v[21:22], s[16:17], v[108:109]
	v_add_f64 v[19:20], v[19:20], v[126:127]
	v_add_f64 v[17:18], v[17:18], v[128:129]
	s_delay_alu instid0(VALU_DEP_4) | instskip(SKIP_3) | instid1(VALU_DEP_3)
	v_add_f64 v[110:111], v[114:115], v[110:111]
	v_fma_f64 v[114:115], v[23:24], s[16:17], v[25:26]
	v_fma_f64 v[23:24], v[23:24], s[16:17], -v[25:26]
	v_add_f64 v[19:20], v[21:22], v[19:20]
	v_add_f64 v[112:113], v[114:115], v[112:113]
	v_mul_f64 v[114:115], v[70:71], s[22:23]
	s_delay_alu instid0(VALU_DEP_4) | instskip(NEXT) | instid1(VALU_DEP_2)
	v_add_f64 v[17:18], v[23:24], v[17:18]
	v_fma_f64 v[70:71], v[72:73], s[12:13], -v[114:115]
	v_fma_f64 v[25:26], v[72:73], s[12:13], v[114:115]
	s_delay_alu instid0(VALU_DEP_2) | instskip(SKIP_1) | instid1(VALU_DEP_3)
	v_add_f64 v[70:71], v[70:71], v[110:111]
	v_mul_f64 v[110:111], v[68:69], s[22:23]
	v_add_f64 v[19:20], v[25:26], v[19:20]
	s_delay_alu instid0(VALU_DEP_2) | instskip(SKIP_1) | instid1(VALU_DEP_2)
	v_fma_f64 v[68:69], v[74:75], s[12:13], v[110:111]
	v_fma_f64 v[60:61], v[74:75], s[12:13], -v[110:111]
	v_add_f64 v[68:69], v[68:69], v[112:113]
	v_fma_f64 v[112:113], v[4:5], s[8:9], -v[82:83]
	v_fma_f64 v[4:5], v[4:5], s[8:9], v[82:83]
	s_delay_alu instid0(VALU_DEP_4) | instskip(NEXT) | instid1(VALU_DEP_3)
	v_add_f64 v[17:18], v[60:61], v[17:18]
	v_add_f64 v[70:71], v[112:113], v[70:71]
	v_fma_f64 v[112:113], v[6:7], s[8:9], v[80:81]
	v_fma_f64 v[6:7], v[6:7], s[8:9], -v[80:81]
	v_add_f64 v[4:5], v[4:5], v[19:20]
	s_delay_alu instid0(VALU_DEP_3) | instskip(SKIP_3) | instid1(VALU_DEP_3)
	v_add_f64 v[112:113], v[112:113], v[68:69]
	v_fma_f64 v[68:69], v[0:1], s[2:3], -v[78:79]
	v_fma_f64 v[0:1], v[0:1], s[2:3], v[78:79]
	v_add_f64 v[6:7], v[6:7], v[17:18]
	v_add_f64 v[68:69], v[68:69], v[70:71]
	v_fma_f64 v[70:71], v[2:3], s[2:3], v[76:77]
	v_fma_f64 v[2:3], v[2:3], s[2:3], -v[76:77]
	v_add_f64 v[60:61], v[0:1], v[4:5]
	v_mul_lo_u16 v0, v8, 13
	s_load_b64 s[2:3], s[0:1], 0x38
	s_delay_alu instid0(VALU_DEP_1) | instskip(NEXT) | instid1(VALU_DEP_1)
	v_and_b32_e32 v0, 0xffff, v0
	v_lshl_add_u32 v221, v0, 4, v27
	v_add_f64 v[70:71], v[70:71], v[112:113]
	v_add_f64 v[62:63], v[2:3], v[6:7]
	ds_store_b128 v221, v[13:16] offset:32
	ds_store_b128 v221, v[52:55] offset:48
	;; [unrolled: 1-line block ×11, first 2 shown]
	ds_store_b128 v221, v[9:12]
	ds_store_b128 v221, v[60:63] offset:192
	s_waitcnt lgkmcnt(0)
	s_barrier
	buffer_gl0_inv
	ds_load_b128 v[108:111], v255
	ds_load_b128 v[68:71], v255 offset:624
	ds_load_b128 v[136:139], v255 offset:2704
	;; [unrolled: 1-line block ×11, first 2 shown]
	s_and_saveexec_b32 s0, vcc_lo
	s_cbranch_execz .LBB0_3
; %bb.2:
	ds_load_b128 v[60:63], v255 offset:2496
	ds_load_b128 v[144:147], v255 offset:5200
	;; [unrolled: 1-line block ×3, first 2 shown]
.LBB0_3:
	s_or_b32 exec_lo, exec_lo, s0
	v_add_nc_u16 v0, v225, 39
	v_and_b32_e32 v1, 0xff, v225
	v_add_nc_u16 v2, v225, 0x4e
	v_add_nc_u16 v4, v225, 0x75
	;; [unrolled: 1-line block ×3, first 2 shown]
	v_and_b32_e32 v3, 0xff, v0
	v_mul_lo_u16 v1, 0x4f, v1
	v_and_b32_e32 v6, 0xff, v2
	s_mov_b32 s0, 0xe8584caa
	v_and_b32_e32 v7, 0xff, v5
	v_mul_lo_u16 v3, 0x4f, v3
	v_lshrrev_b16 v28, 10, v1
	v_and_b32_e32 v1, 0xff, v4
	v_mul_lo_u16 v6, 0x4f, v6
	v_mul_lo_u16 v7, 0x4f, v7
	v_lshrrev_b16 v29, 10, v3
	v_mul_lo_u16 v3, v28, 13
	v_mul_lo_u16 v1, 0x4f, v1
	v_lshrrev_b16 v30, 10, v6
	s_mov_b32 s1, 0x3febb67a
	v_mul_lo_u16 v6, v29, 13
	v_sub_nc_u16 v3, v225, v3
	v_lshrrev_b16 v31, 10, v1
	v_lshrrev_b16 v1, 10, v7
	v_mul_lo_u16 v7, v30, 13
	v_sub_nc_u16 v0, v0, v6
	v_and_b32_e32 v32, 0xff, v3
	v_mul_lo_u16 v3, v31, 13
	v_mul_lo_u16 v1, v1, 13
	v_sub_nc_u16 v2, v2, v7
	v_and_b32_e32 v33, 0xff, v0
	v_lshlrev_b32_e32 v0, 5, v32
	v_sub_nc_u16 v3, v4, v3
	v_sub_nc_u16 v34, v5, v1
	v_and_b32_e32 v35, 0xff, v2
	s_clause 0x1
	global_load_b128 v[72:75], v0, s[10:11] offset:16
	global_load_b128 v[84:87], v0, s[10:11]
	v_lshlrev_b32_e32 v1, 5, v33
	v_lshlrev_b16 v0, 1, v34
	v_and_b32_e32 v36, 0xff, v3
	v_lshlrev_b32_e32 v2, 5, v35
	s_clause 0x1
	global_load_b128 v[92:95], v1, s[10:11]
	global_load_b128 v[88:91], v1, s[10:11] offset:16
	v_and_b32_e32 v0, 0xfe, v0
	v_lshlrev_b32_e32 v1, 5, v36
	s_clause 0x1
	global_load_b128 v[100:103], v2, s[10:11]
	global_load_b128 v[96:99], v2, s[10:11] offset:16
	s_mov_b32 s9, 0xbfebb67a
	s_mov_b32 s8, s0
	v_lshlrev_b32_e32 v0, 4, v0
	s_clause 0x3
	global_load_b128 v[80:83], v1, s[10:11]
	global_load_b128 v[76:79], v1, s[10:11] offset:16
	global_load_b128 v[56:59], v0, s[10:11]
	global_load_b128 v[52:55], v0, s[10:11] offset:16
	s_waitcnt vmcnt(9) lgkmcnt(7)
	v_mul_f64 v[2:3], v[142:143], v[74:75]
	v_mul_f64 v[6:7], v[140:141], v[74:75]
	s_waitcnt vmcnt(8)
	v_mul_f64 v[0:1], v[138:139], v[86:87]
	v_mul_f64 v[4:5], v[136:137], v[86:87]
	s_waitcnt vmcnt(7)
	v_mul_f64 v[8:9], v[122:123], v[94:95]
	s_waitcnt vmcnt(6) lgkmcnt(6)
	v_mul_f64 v[10:11], v[126:127], v[90:91]
	v_mul_f64 v[12:13], v[120:121], v[94:95]
	s_waitcnt vmcnt(5) lgkmcnt(3)
	v_mul_f64 v[16:17], v[130:131], v[102:103]
	s_waitcnt vmcnt(4) lgkmcnt(1)
	v_mul_f64 v[18:19], v[134:135], v[98:99]
	v_mul_f64 v[20:21], v[128:129], v[102:103]
	;; [unrolled: 1-line block ×3, first 2 shown]
	s_waitcnt vmcnt(3)
	v_mul_f64 v[24:25], v[114:115], v[82:83]
	s_waitcnt vmcnt(2) lgkmcnt(0)
	v_mul_f64 v[26:27], v[118:119], v[78:79]
	s_waitcnt vmcnt(1)
	v_mul_f64 v[158:159], v[146:147], v[58:59]
	v_mul_f64 v[14:15], v[124:125], v[90:91]
	;; [unrolled: 1-line block ×4, first 2 shown]
	s_waitcnt vmcnt(0)
	v_mul_f64 v[160:161], v[150:151], v[54:55]
	v_mul_f64 v[162:163], v[144:145], v[58:59]
	;; [unrolled: 1-line block ×3, first 2 shown]
	v_fma_f64 v[140:141], v[140:141], v[72:73], -v[2:3]
	v_fma_f64 v[142:143], v[142:143], v[72:73], v[6:7]
	v_fma_f64 v[136:137], v[136:137], v[84:85], -v[0:1]
	v_fma_f64 v[138:139], v[138:139], v[84:85], v[4:5]
	v_fma_f64 v[8:9], v[120:121], v[92:93], -v[8:9]
	v_fma_f64 v[120:121], v[124:125], v[88:89], -v[10:11]
	v_fma_f64 v[10:11], v[122:123], v[92:93], v[12:13]
	v_fma_f64 v[12:13], v[128:129], v[100:101], -v[16:17]
	v_fma_f64 v[16:17], v[132:133], v[96:97], -v[18:19]
	v_fma_f64 v[18:19], v[130:131], v[100:101], v[20:21]
	v_fma_f64 v[20:21], v[134:135], v[96:97], v[22:23]
	v_fma_f64 v[22:23], v[112:113], v[80:81], -v[24:25]
	v_fma_f64 v[24:25], v[116:117], v[76:77], -v[26:27]
	v_fma_f64 v[2:3], v[144:145], v[56:57], -v[158:159]
	v_fma_f64 v[14:15], v[126:127], v[88:89], v[14:15]
	v_fma_f64 v[26:27], v[114:115], v[80:81], v[154:155]
	v_fma_f64 v[112:113], v[118:119], v[76:77], v[156:157]
	v_fma_f64 v[0:1], v[148:149], v[52:53], -v[160:161]
	v_fma_f64 v[6:7], v[146:147], v[56:57], v[162:163]
	v_fma_f64 v[4:5], v[150:151], v[52:53], v[164:165]
	v_add_f64 v[114:115], v[136:137], v[140:141]
	v_add_f64 v[116:117], v[138:139], v[142:143]
	v_add_f64 v[144:145], v[108:109], v[136:137]
	v_add_f64 v[146:147], v[138:139], -v[142:143]
	v_add_f64 v[138:139], v[110:111], v[138:139]
	v_add_f64 v[118:119], v[8:9], v[120:121]
	v_add_f64 v[148:149], v[68:69], v[8:9]
	v_add_f64 v[154:155], v[104:105], v[12:13]
	v_add_f64 v[124:125], v[12:13], v[16:17]
	v_add_f64 v[156:157], v[106:107], v[18:19]
	v_add_f64 v[126:127], v[18:19], v[20:21]
	v_add_f64 v[158:159], v[64:65], v[22:23]
	v_add_f64 v[128:129], v[22:23], v[24:25]
	v_add_f64 v[22:23], v[22:23], -v[24:25]
	v_add_f64 v[122:123], v[10:11], v[14:15]
	v_add_f64 v[160:161], v[66:67], v[26:27]
	;; [unrolled: 1-line block ×4, first 2 shown]
	v_add_f64 v[162:163], v[8:9], -v[120:121]
	v_add_f64 v[134:135], v[6:7], v[4:5]
	v_add_f64 v[164:165], v[18:19], -v[20:21]
	v_add_f64 v[166:167], v[12:13], -v[16:17]
	;; [unrolled: 1-line block ×5, first 2 shown]
	v_add_f64 v[150:151], v[70:71], v[10:11]
	v_fma_f64 v[108:109], v[114:115], -0.5, v[108:109]
	v_add_f64 v[114:115], v[136:137], -v[140:141]
	v_fma_f64 v[110:111], v[116:117], -0.5, v[110:111]
	v_add_f64 v[136:137], v[10:11], -v[14:15]
	v_add_f64 v[8:9], v[144:145], v[140:141]
	v_fma_f64 v[118:119], v[118:119], -0.5, v[68:69]
	v_add_f64 v[10:11], v[138:139], v[142:143]
	v_add_f64 v[12:13], v[148:149], v[120:121]
	v_fma_f64 v[104:105], v[124:125], -0.5, v[104:105]
	v_add_f64 v[16:17], v[154:155], v[16:17]
	v_fma_f64 v[106:107], v[126:127], -0.5, v[106:107]
	;; [unrolled: 2-line block ×3, first 2 shown]
	v_add_f64 v[64:65], v[158:159], v[24:25]
	scratch_load_b32 v24, off, off          ; 4-byte Folded Reload
	v_fma_f64 v[122:123], v[122:123], -0.5, v[70:71]
	v_fma_f64 v[170:171], v[130:131], -0.5, v[66:67]
	;; [unrolled: 1-line block ×3, first 2 shown]
	v_add_f64 v[66:67], v[160:161], v[112:113]
	v_fma_f64 v[178:179], v[134:135], -0.5, v[62:63]
	v_and_b32_e32 v20, 0xffff, v28
	v_and_b32_e32 v21, 0xffff, v29
	s_waitcnt vmcnt(0)
	s_barrier
	buffer_gl0_inv
	v_add_f64 v[14:15], v[150:151], v[14:15]
	v_mul_u32_u24_e32 v20, 39, v20
	v_mul_u32_u24_e32 v21, 39, v21
	s_delay_alu instid0(VALU_DEP_2) | instskip(NEXT) | instid1(VALU_DEP_2)
	v_add_nc_u32_e32 v20, v20, v32
	v_add_nc_u32_e32 v21, v21, v33
	v_fma_f64 v[68:69], v[146:147], s[0:1], v[108:109]
	v_fma_f64 v[112:113], v[146:147], s[8:9], v[108:109]
	;; [unrolled: 1-line block ×20, first 2 shown]
	v_and_b32_e32 v22, 0xffff, v30
	v_and_b32_e32 v23, 0xffff, v31
	s_delay_alu instid0(VALU_DEP_2) | instskip(NEXT) | instid1(VALU_DEP_2)
	v_mul_u32_u24_e32 v22, 39, v22
	v_mul_u32_u24_e32 v23, 39, v23
	s_delay_alu instid0(VALU_DEP_2) | instskip(NEXT) | instid1(VALU_DEP_2)
	v_add_nc_u32_e32 v22, v22, v35
	v_add_nc_u32_e32 v23, v23, v36
	v_lshl_add_u32 v26, v20, 4, v24
	v_lshl_add_u32 v25, v21, 4, v24
	s_delay_alu instid0(VALU_DEP_4) | instskip(NEXT) | instid1(VALU_DEP_4)
	v_lshl_add_u32 v21, v22, 4, v24
	v_lshl_add_u32 v20, v23, 4, v24
	ds_store_b128 v26, v[8:11]
	ds_store_b128 v26, v[68:71] offset:208
	v_and_b32_e32 v8, 0xff, v34
	scratch_store_b32 off, v26, off offset:184 ; 4-byte Folded Spill
	ds_store_b128 v26, v[112:115] offset:416
	ds_store_b128 v25, v[12:15]
	ds_store_b128 v25, v[116:119] offset:208
	scratch_store_b32 off, v25, off offset:180 ; 4-byte Folded Spill
	ds_store_b128 v25, v[120:123] offset:416
	ds_store_b128 v21, v[16:19]
	ds_store_b128 v21, v[124:127] offset:208
	s_clause 0x1
	scratch_store_b32 off, v8, off offset:168
	scratch_store_b32 off, v21, off offset:176
	ds_store_b128 v21, v[128:131] offset:416
	ds_store_b128 v20, v[64:67]
	ds_store_b128 v20, v[132:135] offset:208
	scratch_store_b32 off, v20, off offset:172 ; 4-byte Folded Spill
	ds_store_b128 v20, v[136:139] offset:416
	s_and_saveexec_b32 s0, vcc_lo
	s_cbranch_execz .LBB0_5
; %bb.4:
	v_add_f64 v[6:7], v[62:63], v[6:7]
	v_add_f64 v[8:9], v[60:61], v[2:3]
	s_delay_alu instid0(VALU_DEP_2)
	v_add_f64 v[2:3], v[6:7], v[4:5]
	s_clause 0x1
	scratch_load_b32 v4, off, off
	scratch_load_b32 v5, off, off offset:168
	v_add_f64 v[0:1], v[8:9], v[0:1]
	s_waitcnt vmcnt(0)
	v_lshl_add_u32 v4, v5, 4, v4
	ds_store_b128 v4, v[0:3] offset:7488
	ds_store_b128 v4, v[104:107] offset:7696
	;; [unrolled: 1-line block ×3, first 2 shown]
.LBB0_5:
	s_or_b32 exec_lo, exec_lo, s0
	v_mad_u64_u32 v[0:1], null, 0xc0, v225, s[10:11]
	scratch_store_b32 off, v225, off offset:52 ; 4-byte Folded Spill
	s_waitcnt lgkmcnt(0)
	s_waitcnt_vscnt null, 0x0
	s_barrier
	buffer_gl0_inv
	s_mov_b32 s30, 0x4267c47c
	s_mov_b32 s18, 0x42a4c3d2
	s_clause 0x2
	global_load_b128 v[68:71], v[0:1], off offset:416
	global_load_b128 v[60:63], v[0:1], off offset:432
	;; [unrolled: 1-line block ×3, first 2 shown]
	ds_load_b128 v[112:115], v255 offset:624
	ds_load_b128 v[4:7], v255
	ds_load_b128 v[8:11], v255 offset:1248
	ds_load_b128 v[12:15], v255 offset:1872
	global_load_b128 v[128:131], v[0:1], off offset:464
	s_mov_b32 s20, 0x66966769
	s_mov_b32 s14, 0x2ef20147
	s_mov_b32 s10, 0x24c2f84
	s_mov_b32 s8, 0x4bc48dbf
	s_mov_b32 s31, 0xbfddbe06
	s_mov_b32 s19, 0xbfea55e2
	s_mov_b32 s21, 0xbfefc445
	s_mov_b32 s15, 0xbfedeba7
	s_mov_b32 s11, 0xbfe5384d
	s_mov_b32 s9, 0xbfcea1e5
	s_mov_b32 s24, 0x1ea71119
	s_mov_b32 s26, 0xebaa3ed8
	s_mov_b32 s22, 0xb2365da1
	s_mov_b32 s16, 0xd0032e0c
	s_mov_b32 s12, 0x93053d00
	s_mov_b32 s25, 0x3fe22d96
	s_mov_b32 s27, 0x3fbedb7d
	s_mov_b32 s23, 0xbfd6b1d8
	s_mov_b32 s17, 0xbfe7f3cc
	s_mov_b32 s13, 0xbfef11f4
	s_mov_b32 s39, 0x3fe5384d
	s_mov_b32 s38, s10
	s_mov_b32 s34, s20
	s_mov_b32 s37, 0x3fddbe06
	s_mov_b32 s36, s30
	s_mov_b32 s41, 0x3fedeba7
	s_mov_b32 s40, s14
	s_mov_b32 s45, 0x3fcea1e5
	s_mov_b32 s44, s8
	s_mov_b32 s43, 0x3fea55e2
	s_mov_b32 s42, s18
	s_waitcnt vmcnt(3) lgkmcnt(3)
	v_mul_f64 v[2:3], v[114:115], v[70:71]
	v_mul_f64 v[16:17], v[112:113], v[70:71]
	s_waitcnt vmcnt(2) lgkmcnt(1)
	v_mul_f64 v[18:19], v[10:11], v[62:63]
	s_delay_alu instid0(VALU_DEP_3) | instskip(SKIP_1) | instid1(VALU_DEP_4)
	v_fma_f64 v[20:21], v[112:113], v[68:69], -v[2:3]
	v_mul_f64 v[2:3], v[8:9], v[62:63]
	v_fma_f64 v[16:17], v[114:115], v[68:69], v[16:17]
	s_delay_alu instid0(VALU_DEP_4) | instskip(NEXT) | instid1(VALU_DEP_3)
	v_fma_f64 v[154:155], v[8:9], v[60:61], -v[18:19]
	v_fma_f64 v[156:157], v[10:11], v[60:61], v[2:3]
	s_waitcnt vmcnt(1) lgkmcnt(0)
	v_mul_f64 v[2:3], v[14:15], v[66:67]
	s_delay_alu instid0(VALU_DEP_1) | instskip(SKIP_1) | instid1(VALU_DEP_1)
	v_fma_f64 v[158:159], v[12:13], v[64:65], -v[2:3]
	v_mul_f64 v[2:3], v[12:13], v[66:67]
	v_fma_f64 v[160:161], v[14:15], v[64:65], v[2:3]
	ds_load_b128 v[8:11], v255 offset:2496
	ds_load_b128 v[12:15], v255 offset:3120
	s_clause 0x1
	global_load_b128 v[116:119], v[0:1], off offset:480
	global_load_b128 v[112:115], v[0:1], off offset:496
	s_waitcnt vmcnt(2) lgkmcnt(1)
	v_mul_f64 v[2:3], v[10:11], v[130:131]
	s_delay_alu instid0(VALU_DEP_1) | instskip(SKIP_1) | instid1(VALU_DEP_1)
	v_fma_f64 v[162:163], v[8:9], v[128:129], -v[2:3]
	v_mul_f64 v[2:3], v[8:9], v[130:131]
	v_fma_f64 v[164:165], v[10:11], v[128:129], v[2:3]
	s_waitcnt vmcnt(1) lgkmcnt(0)
	v_mul_f64 v[2:3], v[14:15], v[118:119]
	s_delay_alu instid0(VALU_DEP_1) | instskip(SKIP_1) | instid1(VALU_DEP_1)
	v_fma_f64 v[166:167], v[12:13], v[116:117], -v[2:3]
	v_mul_f64 v[2:3], v[12:13], v[118:119]
	v_fma_f64 v[168:169], v[14:15], v[116:117], v[2:3]
	ds_load_b128 v[8:11], v255 offset:3744
	ds_load_b128 v[12:15], v255 offset:4368
	s_clause 0x1
	global_load_b128 v[124:127], v[0:1], off offset:512
	global_load_b128 v[120:123], v[0:1], off offset:528
	s_waitcnt vmcnt(2) lgkmcnt(1)
	v_mul_f64 v[2:3], v[10:11], v[114:115]
	s_delay_alu instid0(VALU_DEP_1) | instskip(SKIP_1) | instid1(VALU_DEP_1)
	v_fma_f64 v[170:171], v[8:9], v[112:113], -v[2:3]
	v_mul_f64 v[2:3], v[8:9], v[114:115]
	v_fma_f64 v[172:173], v[10:11], v[112:113], v[2:3]
	s_waitcnt vmcnt(1) lgkmcnt(0)
	v_mul_f64 v[2:3], v[14:15], v[126:127]
	s_delay_alu instid0(VALU_DEP_1) | instskip(SKIP_1) | instid1(VALU_DEP_2)
	v_fma_f64 v[174:175], v[12:13], v[124:125], -v[2:3]
	v_mul_f64 v[2:3], v[12:13], v[126:127]
	v_add_f64 v[30:31], v[170:171], v[174:175]
	s_delay_alu instid0(VALU_DEP_2)
	v_fma_f64 v[176:177], v[14:15], v[124:125], v[2:3]
	ds_load_b128 v[8:11], v255 offset:4992
	ds_load_b128 v[12:15], v255 offset:5616
	s_clause 0x1
	global_load_b128 v[132:135], v[0:1], off offset:544
	global_load_b128 v[136:139], v[0:1], off offset:560
	s_waitcnt vmcnt(2) lgkmcnt(1)
	v_mul_f64 v[2:3], v[10:11], v[122:123]
	v_add_f64 v[28:29], v[172:173], -v[176:177]
	v_add_f64 v[36:37], v[172:173], v[176:177]
	s_delay_alu instid0(VALU_DEP_3) | instskip(SKIP_1) | instid1(VALU_DEP_4)
	v_fma_f64 v[178:179], v[8:9], v[120:121], -v[2:3]
	v_mul_f64 v[2:3], v[8:9], v[122:123]
	v_mul_f64 v[32:33], v[28:29], s[8:9]
	s_delay_alu instid0(VALU_DEP_2) | instskip(NEXT) | instid1(VALU_DEP_2)
	v_fma_f64 v[180:181], v[10:11], v[120:121], v[2:3]
	v_fma_f64 v[34:35], v[30:31], s[12:13], -v[32:33]
	s_waitcnt vmcnt(1) lgkmcnt(0)
	v_mul_f64 v[2:3], v[14:15], v[134:135]
	s_delay_alu instid0(VALU_DEP_1) | instskip(SKIP_1) | instid1(VALU_DEP_2)
	v_fma_f64 v[182:183], v[12:13], v[132:133], -v[2:3]
	v_mul_f64 v[2:3], v[12:13], v[134:135]
	v_add_f64 v[247:248], v[162:163], v[182:183]
	s_delay_alu instid0(VALU_DEP_2)
	v_fma_f64 v[184:185], v[14:15], v[132:133], v[2:3]
	ds_load_b128 v[8:11], v255 offset:6240
	ds_load_b128 v[12:15], v255 offset:6864
	s_clause 0x1
	global_load_b128 v[140:143], v[0:1], off offset:576
	global_load_b128 v[144:147], v[0:1], off offset:592
	s_waitcnt vmcnt(2) lgkmcnt(1)
	v_mul_f64 v[2:3], v[10:11], v[138:139]
	v_add_f64 v[249:250], v[164:165], v[184:185]
	s_delay_alu instid0(VALU_DEP_2) | instskip(SKIP_1) | instid1(VALU_DEP_2)
	v_fma_f64 v[186:187], v[8:9], v[136:137], -v[2:3]
	v_mul_f64 v[2:3], v[8:9], v[138:139]
	v_add_f64 v[241:242], v[158:159], -v[186:187]
	s_delay_alu instid0(VALU_DEP_2) | instskip(NEXT) | instid1(VALU_DEP_1)
	v_fma_f64 v[188:189], v[10:11], v[136:137], v[2:3]
	v_add_f64 v[239:240], v[160:161], -v[188:189]
	s_waitcnt vmcnt(1) lgkmcnt(0)
	v_mul_f64 v[0:1], v[14:15], v[142:143]
	s_delay_alu instid0(VALU_DEP_1) | instskip(SKIP_1) | instid1(VALU_DEP_1)
	v_fma_f64 v[190:191], v[12:13], v[140:141], -v[0:1]
	v_mul_f64 v[0:1], v[12:13], v[142:143]
	v_fma_f64 v[192:193], v[14:15], v[140:141], v[0:1]
	ds_load_b128 v[0:3], v255 offset:7488
	s_waitcnt vmcnt(0) lgkmcnt(0)
	v_mul_f64 v[8:9], v[0:1], v[146:147]
	s_delay_alu instid0(VALU_DEP_1) | instskip(SKIP_1) | instid1(VALU_DEP_2)
	v_fma_f64 v[194:195], v[2:3], v[144:145], v[8:9]
	v_mul_f64 v[2:3], v[2:3], v[146:147]
	v_add_f64 v[211:212], v[16:17], v[194:195]
	s_delay_alu instid0(VALU_DEP_2) | instskip(SKIP_1) | instid1(VALU_DEP_2)
	v_fma_f64 v[196:197], v[0:1], v[144:145], -v[2:3]
	v_add_f64 v[0:1], v[16:17], -v[194:195]
	v_add_f64 v[18:19], v[20:21], v[196:197]
	s_delay_alu instid0(VALU_DEP_2)
	v_mul_f64 v[2:3], v[0:1], s[30:31]
	v_mul_f64 v[8:9], v[0:1], s[18:19]
	;; [unrolled: 1-line block ×6, first 2 shown]
	v_fma_f64 v[22:23], v[18:19], s[28:29], -v[2:3]
	v_fma_f64 v[2:3], v[18:19], s[28:29], v[2:3]
	v_fma_f64 v[24:25], v[18:19], s[24:25], -v[8:9]
	v_fma_f64 v[8:9], v[18:19], s[24:25], v[8:9]
	v_fma_f64 v[26:27], v[18:19], s[26:27], -v[10:11]
	v_fma_f64 v[10:11], v[18:19], s[26:27], v[10:11]
	v_fma_f64 v[148:149], v[18:19], s[22:23], -v[12:13]
	v_fma_f64 v[12:13], v[18:19], s[22:23], v[12:13]
	v_fma_f64 v[150:151], v[18:19], s[16:17], -v[14:15]
	v_fma_f64 v[203:204], v[18:19], s[16:17], v[14:15]
	v_fma_f64 v[207:208], v[18:19], s[12:13], -v[0:1]
	v_fma_f64 v[18:19], v[18:19], s[12:13], v[0:1]
	v_add_f64 v[0:1], v[20:21], -v[196:197]
	v_add_f64 v[231:232], v[4:5], v[2:3]
	v_add_f64 v[227:228], v[4:5], v[24:25]
	;; [unrolled: 1-line block ×5, first 2 shown]
	v_mul_f64 v[209:210], v[0:1], s[10:11]
	v_mul_f64 v[201:202], v[0:1], s[20:21]
	;; [unrolled: 1-line block ×6, first 2 shown]
	v_fma_f64 v[233:234], v[211:212], s[16:17], v[209:210]
	v_fma_f64 v[217:218], v[211:212], s[26:27], v[201:202]
	v_fma_f64 v[223:224], v[211:212], s[26:27], -v[201:202]
	v_add_f64 v[201:202], v[4:5], v[8:9]
	v_fma_f64 v[209:210], v[211:212], s[16:17], -v[209:210]
	v_fma_f64 v[213:214], v[211:212], s[28:29], v[14:15]
	v_fma_f64 v[14:15], v[211:212], s[28:29], -v[14:15]
	v_fma_f64 v[215:216], v[211:212], s[24:25], v[198:199]
	;; [unrolled: 2-line block ×4, first 2 shown]
	v_fma_f64 v[211:212], v[211:212], s[12:13], -v[0:1]
	v_add_f64 v[0:1], v[4:5], v[20:21]
	v_add_f64 v[8:9], v[6:7], v[233:234]
	v_add_f64 v[251:252], v[6:7], v[217:218]
	v_add_f64 v[217:218], v[154:155], -v[190:191]
	v_add_f64 v[243:244], v[6:7], v[223:224]
	v_add_f64 v[223:224], v[158:159], v[186:187]
	;; [unrolled: 1-line block ×5, first 2 shown]
	v_add_f64 v[215:216], v[156:157], -v[192:193]
	v_add_f64 v[229:230], v[6:7], v[14:15]
	v_add_f64 v[14:15], v[6:7], v[225:226]
	;; [unrolled: 1-line block ×4, first 2 shown]
	scratch_store_b64 off, v[8:9], off offset:256 ; 8-byte Folded Spill
	v_add_f64 v[8:9], v[4:5], v[203:204]
	v_add_f64 v[203:204], v[164:165], -v[184:185]
	v_mul_f64 v[233:234], v[215:216], s[18:19]
	scratch_store_b64 off, v[8:9], off offset:248 ; 8-byte Folded Spill
	v_add_f64 v[8:9], v[6:7], v[209:210]
	v_add_f64 v[209:210], v[156:157], v[192:193]
	scratch_store_b64 off, v[8:9], off offset:240 ; 8-byte Folded Spill
	v_add_f64 v[8:9], v[4:5], v[207:208]
	v_add_f64 v[207:208], v[154:155], v[190:191]
	scratch_store_b64 off, v[8:9], off offset:232 ; 8-byte Folded Spill
	v_add_f64 v[8:9], v[6:7], v[235:236]
	scratch_store_b64 off, v[0:1], off offset:192 ; 8-byte Folded Spill
	v_add_f64 v[0:1], v[6:7], v[16:17]
	v_add_f64 v[16:17], v[4:5], v[22:23]
	v_mul_f64 v[235:236], v[203:204], s[14:15]
	s_clause 0x1
	scratch_store_b64 off, v[8:9], off offset:224
	scratch_store_b64 off, v[0:1], off offset:200
	v_add_f64 v[0:1], v[6:7], v[198:199]
	v_add_f64 v[198:199], v[4:5], v[12:13]
	;; [unrolled: 1-line block ×3, first 2 shown]
	scratch_store_b64 off, v[4:5], off offset:208 ; 8-byte Folded Spill
	v_add_f64 v[4:5], v[6:7], v[211:212]
	v_add_f64 v[211:212], v[162:163], -v[182:183]
	scratch_store_b64 off, v[4:5], off offset:216 ; 8-byte Folded Spill
	v_fma_f64 v[4:5], v[207:208], s[24:25], -v[233:234]
	v_mul_f64 v[237:238], v[211:212], s[14:15]
	s_delay_alu instid0(VALU_DEP_2) | instskip(SKIP_1) | instid1(VALU_DEP_1)
	v_add_f64 v[8:9], v[4:5], v[16:17]
	v_mul_f64 v[4:5], v[217:218], s[18:19]
	v_fma_f64 v[6:7], v[209:210], s[24:25], v[4:5]
	v_fma_f64 v[4:5], v[209:210], s[24:25], -v[4:5]
	s_delay_alu instid0(VALU_DEP_2) | instskip(SKIP_1) | instid1(VALU_DEP_3)
	v_add_f64 v[10:11], v[6:7], v[20:21]
	v_mul_f64 v[6:7], v[239:240], s[20:21]
	v_add_f64 v[4:5], v[4:5], v[229:230]
	s_delay_alu instid0(VALU_DEP_2) | instskip(SKIP_1) | instid1(VALU_DEP_2)
	v_fma_f64 v[12:13], v[223:224], s[26:27], -v[6:7]
	v_fma_f64 v[6:7], v[223:224], s[26:27], v[6:7]
	v_add_f64 v[12:13], v[12:13], v[8:9]
	v_mul_f64 v[8:9], v[241:242], s[20:21]
	s_delay_alu instid0(VALU_DEP_1) | instskip(SKIP_1) | instid1(VALU_DEP_2)
	v_fma_f64 v[16:17], v[225:226], s[26:27], v[8:9]
	v_fma_f64 v[8:9], v[225:226], s[26:27], -v[8:9]
	v_add_f64 v[10:11], v[16:17], v[10:11]
	v_fma_f64 v[16:17], v[247:248], s[22:23], -v[235:236]
	s_delay_alu instid0(VALU_DEP_3) | instskip(SKIP_2) | instid1(VALU_DEP_4)
	v_add_f64 v[4:5], v[8:9], v[4:5]
	v_fma_f64 v[8:9], v[247:248], s[22:23], v[235:236]
	v_mul_f64 v[235:236], v[28:29], s[36:37]
	v_add_f64 v[12:13], v[16:17], v[12:13]
	v_fma_f64 v[16:17], v[249:250], s[22:23], v[237:238]
	s_delay_alu instid0(VALU_DEP_1) | instskip(SKIP_2) | instid1(VALU_DEP_2)
	v_add_f64 v[20:21], v[16:17], v[10:11]
	v_add_f64 v[16:17], v[168:169], -v[180:181]
	v_add_f64 v[10:11], v[166:167], v[178:179]
	v_mul_f64 v[22:23], v[16:17], s[10:11]
	s_delay_alu instid0(VALU_DEP_1) | instskip(NEXT) | instid1(VALU_DEP_1)
	v_fma_f64 v[18:19], v[10:11], s[16:17], -v[22:23]
	v_add_f64 v[24:25], v[18:19], v[12:13]
	v_add_f64 v[18:19], v[166:167], -v[178:179]
	v_add_f64 v[12:13], v[168:169], v[180:181]
	s_delay_alu instid0(VALU_DEP_2) | instskip(NEXT) | instid1(VALU_DEP_1)
	v_mul_f64 v[26:27], v[18:19], s[10:11]
	v_fma_f64 v[148:149], v[12:13], s[16:17], v[26:27]
	s_delay_alu instid0(VALU_DEP_1) | instskip(SKIP_2) | instid1(VALU_DEP_1)
	v_add_f64 v[20:21], v[148:149], v[20:21]
	v_add_f64 v[148:149], v[34:35], v[24:25]
	v_add_f64 v[34:35], v[170:171], -v[174:175]
	v_mul_f64 v[24:25], v[34:35], s[8:9]
	s_delay_alu instid0(VALU_DEP_1) | instskip(NEXT) | instid1(VALU_DEP_1)
	v_fma_f64 v[38:39], v[36:37], s[12:13], v[24:25]
	v_add_f64 v[150:151], v[38:39], v[20:21]
	v_fma_f64 v[20:21], v[207:208], s[24:25], v[233:234]
	v_mul_f64 v[233:234], v[18:19], s[34:35]
	s_delay_alu instid0(VALU_DEP_2) | instskip(SKIP_1) | instid1(VALU_DEP_2)
	v_add_f64 v[20:21], v[20:21], v[231:232]
	v_mul_f64 v[231:232], v[16:17], s[34:35]
	v_add_f64 v[6:7], v[6:7], v[20:21]
	v_fma_f64 v[20:21], v[36:37], s[12:13], -v[24:25]
	s_delay_alu instid0(VALU_DEP_2) | instskip(SKIP_1) | instid1(VALU_DEP_1)
	v_add_f64 v[6:7], v[8:9], v[6:7]
	v_fma_f64 v[8:9], v[249:250], s[22:23], -v[237:238]
	v_add_f64 v[4:5], v[8:9], v[4:5]
	v_fma_f64 v[8:9], v[10:11], s[16:17], v[22:23]
	v_mul_f64 v[22:23], v[217:218], s[14:15]
	s_delay_alu instid0(VALU_DEP_2) | instskip(SKIP_2) | instid1(VALU_DEP_4)
	v_add_f64 v[6:7], v[8:9], v[6:7]
	v_fma_f64 v[8:9], v[12:13], s[16:17], -v[26:27]
	v_mul_f64 v[26:27], v[239:240], s[8:9]
	v_fma_f64 v[24:25], v[209:210], s[22:23], v[22:23]
	v_fma_f64 v[22:23], v[209:210], s[22:23], -v[22:23]
	s_delay_alu instid0(VALU_DEP_4)
	v_add_f64 v[8:9], v[8:9], v[4:5]
	v_fma_f64 v[4:5], v[30:31], s[12:13], v[32:33]
	v_fma_f64 v[32:33], v[223:224], s[12:13], -v[26:27]
	v_add_f64 v[24:25], v[24:25], v[219:220]
	v_add_f64 v[0:1], v[22:23], v[0:1]
	v_fma_f64 v[22:23], v[223:224], s[12:13], v[26:27]
	v_add_f64 v[4:5], v[4:5], v[6:7]
	v_add_f64 v[6:7], v[20:21], v[8:9]
	v_mul_f64 v[8:9], v[215:216], s[14:15]
	s_delay_alu instid0(VALU_DEP_1) | instskip(SKIP_1) | instid1(VALU_DEP_2)
	v_fma_f64 v[20:21], v[207:208], s[22:23], -v[8:9]
	v_fma_f64 v[8:9], v[207:208], s[22:23], v[8:9]
	v_add_f64 v[20:21], v[20:21], v[227:228]
	s_delay_alu instid0(VALU_DEP_2) | instskip(NEXT) | instid1(VALU_DEP_2)
	v_add_f64 v[8:9], v[8:9], v[201:202]
	v_add_f64 v[20:21], v[32:33], v[20:21]
	v_mul_f64 v[32:33], v[241:242], s[8:9]
	s_delay_alu instid0(VALU_DEP_3) | instskip(NEXT) | instid1(VALU_DEP_2)
	v_add_f64 v[8:9], v[22:23], v[8:9]
	v_fma_f64 v[38:39], v[225:226], s[12:13], v[32:33]
	v_fma_f64 v[22:23], v[225:226], s[12:13], -v[32:33]
	s_delay_alu instid0(VALU_DEP_2) | instskip(SKIP_1) | instid1(VALU_DEP_3)
	v_add_f64 v[24:25], v[38:39], v[24:25]
	v_mul_f64 v[38:39], v[203:204], s[38:39]
	v_add_f64 v[0:1], v[22:23], v[0:1]
	s_delay_alu instid0(VALU_DEP_2) | instskip(SKIP_1) | instid1(VALU_DEP_2)
	v_fma_f64 v[219:220], v[247:248], s[16:17], -v[38:39]
	v_fma_f64 v[22:23], v[247:248], s[16:17], v[38:39]
	v_add_f64 v[20:21], v[219:220], v[20:21]
	v_mul_f64 v[219:220], v[211:212], s[38:39]
	s_delay_alu instid0(VALU_DEP_3) | instskip(NEXT) | instid1(VALU_DEP_2)
	v_add_f64 v[8:9], v[22:23], v[8:9]
	v_fma_f64 v[227:228], v[249:250], s[16:17], v[219:220]
	v_fma_f64 v[22:23], v[249:250], s[16:17], -v[219:220]
	s_delay_alu instid0(VALU_DEP_2) | instskip(SKIP_1) | instid1(VALU_DEP_3)
	v_add_f64 v[24:25], v[227:228], v[24:25]
	v_fma_f64 v[227:228], v[10:11], s[26:27], -v[231:232]
	v_add_f64 v[0:1], v[22:23], v[0:1]
	v_fma_f64 v[22:23], v[10:11], s[26:27], v[231:232]
	s_delay_alu instid0(VALU_DEP_3) | instskip(SKIP_1) | instid1(VALU_DEP_3)
	v_add_f64 v[20:21], v[227:228], v[20:21]
	v_fma_f64 v[227:228], v[12:13], s[26:27], v[233:234]
	v_add_f64 v[8:9], v[22:23], v[8:9]
	v_fma_f64 v[22:23], v[12:13], s[26:27], -v[233:234]
	s_delay_alu instid0(VALU_DEP_3) | instskip(SKIP_1) | instid1(VALU_DEP_3)
	v_add_f64 v[24:25], v[227:228], v[24:25]
	v_fma_f64 v[227:228], v[30:31], s[28:29], -v[235:236]
	v_add_f64 v[0:1], v[22:23], v[0:1]
	v_fma_f64 v[22:23], v[30:31], s[28:29], v[235:236]
	s_delay_alu instid0(VALU_DEP_3) | instskip(SKIP_1) | instid1(VALU_DEP_3)
	v_add_f64 v[227:228], v[227:228], v[20:21]
	v_mul_f64 v[20:21], v[34:35], s[36:37]
	v_add_f64 v[231:232], v[22:23], v[8:9]
	s_delay_alu instid0(VALU_DEP_2) | instskip(SKIP_1) | instid1(VALU_DEP_2)
	v_fma_f64 v[229:230], v[36:37], s[28:29], v[20:21]
	v_fma_f64 v[20:21], v[36:37], s[28:29], -v[20:21]
	v_add_f64 v[229:230], v[229:230], v[24:25]
	s_delay_alu instid0(VALU_DEP_2) | instskip(SKIP_3) | instid1(VALU_DEP_3)
	v_add_f64 v[233:234], v[20:21], v[0:1]
	v_mul_f64 v[0:1], v[215:216], s[8:9]
	v_mul_f64 v[24:25], v[239:240], s[40:41]
	;; [unrolled: 1-line block ×3, first 2 shown]
	v_fma_f64 v[8:9], v[207:208], s[12:13], -v[0:1]
	s_delay_alu instid0(VALU_DEP_3) | instskip(NEXT) | instid1(VALU_DEP_3)
	v_fma_f64 v[26:27], v[223:224], s[22:23], -v[24:25]
	v_fma_f64 v[22:23], v[209:210], s[12:13], v[20:21]
	v_fma_f64 v[0:1], v[207:208], s[12:13], v[0:1]
	v_fma_f64 v[20:21], v[209:210], s[12:13], -v[20:21]
	v_add_f64 v[8:9], v[8:9], v[253:254]
	s_delay_alu instid0(VALU_DEP_4)
	v_add_f64 v[22:23], v[22:23], v[251:252]
	v_mul_f64 v[251:252], v[28:29], s[10:11]
	v_add_f64 v[0:1], v[0:1], v[245:246]
	v_add_f64 v[20:21], v[20:21], v[243:244]
	;; [unrolled: 1-line block ×3, first 2 shown]
	v_mul_f64 v[26:27], v[241:242], s[40:41]
	s_delay_alu instid0(VALU_DEP_1) | instskip(NEXT) | instid1(VALU_DEP_1)
	v_fma_f64 v[32:33], v[225:226], s[22:23], v[26:27]
	v_add_f64 v[22:23], v[32:33], v[22:23]
	v_mul_f64 v[32:33], v[203:204], s[36:37]
	s_delay_alu instid0(VALU_DEP_1) | instskip(NEXT) | instid1(VALU_DEP_1)
	v_fma_f64 v[38:39], v[247:248], s[28:29], -v[32:33]
	v_add_f64 v[8:9], v[38:39], v[8:9]
	v_mul_f64 v[38:39], v[211:212], s[36:37]
	s_delay_alu instid0(VALU_DEP_1) | instskip(NEXT) | instid1(VALU_DEP_1)
	v_fma_f64 v[201:202], v[249:250], s[28:29], v[38:39]
	v_add_f64 v[22:23], v[201:202], v[22:23]
	v_mul_f64 v[201:202], v[16:17], s[18:19]
	s_delay_alu instid0(VALU_DEP_1) | instskip(NEXT) | instid1(VALU_DEP_1)
	v_fma_f64 v[219:220], v[10:11], s[24:25], -v[201:202]
	v_add_f64 v[8:9], v[219:220], v[8:9]
	v_mul_f64 v[219:220], v[18:19], s[18:19]
	s_delay_alu instid0(VALU_DEP_1) | instskip(NEXT) | instid1(VALU_DEP_1)
	v_fma_f64 v[235:236], v[12:13], s[24:25], v[219:220]
	v_add_f64 v[22:23], v[235:236], v[22:23]
	v_fma_f64 v[235:236], v[30:31], s[16:17], -v[251:252]
	s_delay_alu instid0(VALU_DEP_1) | instskip(SKIP_1) | instid1(VALU_DEP_1)
	v_add_f64 v[235:236], v[235:236], v[8:9]
	v_mul_f64 v[8:9], v[34:35], s[10:11]
	v_fma_f64 v[237:238], v[36:37], s[16:17], v[8:9]
	v_fma_f64 v[8:9], v[36:37], s[16:17], -v[8:9]
	s_delay_alu instid0(VALU_DEP_2) | instskip(SKIP_1) | instid1(VALU_DEP_1)
	v_add_f64 v[237:238], v[237:238], v[22:23]
	v_fma_f64 v[22:23], v[223:224], s[22:23], v[24:25]
	v_add_f64 v[0:1], v[22:23], v[0:1]
	v_fma_f64 v[22:23], v[225:226], s[22:23], -v[26:27]
	s_delay_alu instid0(VALU_DEP_1) | instskip(SKIP_1) | instid1(VALU_DEP_1)
	v_add_f64 v[20:21], v[22:23], v[20:21]
	v_fma_f64 v[22:23], v[247:248], s[28:29], v[32:33]
	v_add_f64 v[0:1], v[22:23], v[0:1]
	v_fma_f64 v[22:23], v[249:250], s[28:29], -v[38:39]
	s_delay_alu instid0(VALU_DEP_1) | instskip(SKIP_1) | instid1(VALU_DEP_1)
	v_add_f64 v[20:21], v[22:23], v[20:21]
	v_fma_f64 v[22:23], v[10:11], s[24:25], v[201:202]
	v_add_f64 v[0:1], v[22:23], v[0:1]
	v_fma_f64 v[22:23], v[12:13], s[24:25], -v[219:220]
	s_delay_alu instid0(VALU_DEP_1) | instskip(SKIP_1) | instid1(VALU_DEP_2)
	v_add_f64 v[20:21], v[22:23], v[20:21]
	v_fma_f64 v[22:23], v[30:31], s[16:17], v[251:252]
	v_add_f64 v[245:246], v[8:9], v[20:21]
	v_mul_f64 v[8:9], v[215:216], s[38:39]
	s_delay_alu instid0(VALU_DEP_3) | instskip(SKIP_1) | instid1(VALU_DEP_3)
	v_add_f64 v[243:244], v[22:23], v[0:1]
	v_mul_f64 v[20:21], v[217:218], s[38:39]
	v_fma_f64 v[0:1], v[207:208], s[16:17], -v[8:9]
	v_fma_f64 v[8:9], v[207:208], s[16:17], v[8:9]
	s_delay_alu instid0(VALU_DEP_2) | instskip(NEXT) | instid1(VALU_DEP_4)
	v_add_f64 v[0:1], v[0:1], v[2:3]
	v_fma_f64 v[2:3], v[209:210], s[16:17], v[20:21]
	s_delay_alu instid0(VALU_DEP_3) | instskip(SKIP_2) | instid1(VALU_DEP_4)
	v_add_f64 v[8:9], v[8:9], v[198:199]
	v_fma_f64 v[20:21], v[209:210], s[16:17], -v[20:21]
	v_mul_f64 v[198:199], v[211:212], s[44:45]
	v_add_f64 v[2:3], v[2:3], v[14:15]
	v_mul_f64 v[14:15], v[239:240], s[36:37]
	s_delay_alu instid0(VALU_DEP_4) | instskip(SKIP_1) | instid1(VALU_DEP_3)
	v_add_f64 v[20:21], v[20:21], v[205:206]
	v_mul_f64 v[205:206], v[18:19], s[36:37]
	v_fma_f64 v[22:23], v[223:224], s[28:29], -v[14:15]
	v_fma_f64 v[14:15], v[223:224], s[28:29], v[14:15]
	s_delay_alu instid0(VALU_DEP_2) | instskip(SKIP_1) | instid1(VALU_DEP_3)
	v_add_f64 v[0:1], v[22:23], v[0:1]
	v_mul_f64 v[22:23], v[241:242], s[36:37]
	v_add_f64 v[8:9], v[14:15], v[8:9]
	s_delay_alu instid0(VALU_DEP_2) | instskip(SKIP_1) | instid1(VALU_DEP_2)
	v_fma_f64 v[24:25], v[225:226], s[28:29], v[22:23]
	v_fma_f64 v[14:15], v[225:226], s[28:29], -v[22:23]
	v_add_f64 v[2:3], v[24:25], v[2:3]
	v_mul_f64 v[24:25], v[203:204], s[20:21]
	s_delay_alu instid0(VALU_DEP_3) | instskip(NEXT) | instid1(VALU_DEP_2)
	v_add_f64 v[14:15], v[14:15], v[20:21]
	v_fma_f64 v[26:27], v[247:248], s[26:27], -v[24:25]
	v_fma_f64 v[20:21], v[247:248], s[26:27], v[24:25]
	v_mul_f64 v[24:25], v[217:218], s[34:35]
	s_delay_alu instid0(VALU_DEP_3) | instskip(SKIP_1) | instid1(VALU_DEP_4)
	v_add_f64 v[0:1], v[26:27], v[0:1]
	v_mul_f64 v[26:27], v[211:212], s[20:21]
	v_add_f64 v[8:9], v[20:21], v[8:9]
	s_delay_alu instid0(VALU_DEP_2) | instskip(SKIP_2) | instid1(VALU_DEP_3)
	v_fma_f64 v[32:33], v[249:250], s[26:27], v[26:27]
	v_fma_f64 v[20:21], v[249:250], s[26:27], -v[26:27]
	v_mul_f64 v[26:27], v[239:240], s[18:19]
	v_add_f64 v[2:3], v[32:33], v[2:3]
	v_mul_f64 v[32:33], v[16:17], s[44:45]
	s_delay_alu instid0(VALU_DEP_4) | instskip(NEXT) | instid1(VALU_DEP_2)
	v_add_f64 v[14:15], v[20:21], v[14:15]
	v_fma_f64 v[38:39], v[10:11], s[12:13], -v[32:33]
	v_fma_f64 v[20:21], v[10:11], s[12:13], v[32:33]
	v_mul_f64 v[32:33], v[241:242], s[18:19]
	s_delay_alu instid0(VALU_DEP_3) | instskip(SKIP_1) | instid1(VALU_DEP_4)
	v_add_f64 v[0:1], v[38:39], v[0:1]
	v_mul_f64 v[38:39], v[18:19], s[44:45]
	v_add_f64 v[8:9], v[20:21], v[8:9]
	v_mul_f64 v[18:19], v[18:19], s[14:15]
	s_delay_alu instid0(VALU_DEP_3) | instskip(SKIP_3) | instid1(VALU_DEP_4)
	v_fma_f64 v[201:202], v[12:13], s[12:13], v[38:39]
	v_fma_f64 v[20:21], v[12:13], s[12:13], -v[38:39]
	v_mul_f64 v[38:39], v[203:204], s[44:45]
	v_mul_f64 v[203:204], v[203:204], s[42:43]
	v_add_f64 v[2:3], v[201:202], v[2:3]
	v_mul_f64 v[201:202], v[28:29], s[42:43]
	v_add_f64 v[14:15], v[20:21], v[14:15]
	s_delay_alu instid0(VALU_DEP_2) | instskip(SKIP_2) | instid1(VALU_DEP_3)
	v_fma_f64 v[219:220], v[30:31], s[24:25], -v[201:202]
	v_fma_f64 v[20:21], v[30:31], s[24:25], v[201:202]
	v_mul_f64 v[201:202], v[16:17], s[36:37]
	v_add_f64 v[0:1], v[219:220], v[0:1]
	v_mul_f64 v[219:220], v[34:35], s[42:43]
	s_delay_alu instid0(VALU_DEP_1) | instskip(SKIP_1) | instid1(VALU_DEP_2)
	v_fma_f64 v[22:23], v[36:37], s[24:25], -v[219:220]
	v_fma_f64 v[251:252], v[36:37], s[24:25], v[219:220]
	v_add_f64 v[253:254], v[22:23], v[14:15]
	scratch_load_b64 v[22:23], off, off offset:256 ; 8-byte Folded Reload
	v_add_f64 v[2:3], v[251:252], v[2:3]
	v_add_f64 v[251:252], v[20:21], v[8:9]
	v_mul_f64 v[8:9], v[215:216], s[34:35]
	v_fma_f64 v[20:21], v[209:210], s[26:27], v[24:25]
	v_fma_f64 v[24:25], v[209:210], s[26:27], -v[24:25]
	s_delay_alu instid0(VALU_DEP_3) | instskip(SKIP_1) | instid1(VALU_DEP_2)
	v_fma_f64 v[14:15], v[207:208], s[26:27], -v[8:9]
	v_fma_f64 v[8:9], v[207:208], s[26:27], v[8:9]
	v_add_f64 v[14:15], v[14:15], v[213:214]
	v_mul_f64 v[213:214], v[28:29], s[14:15]
	v_mul_f64 v[28:29], v[28:29], s[34:35]
	s_waitcnt vmcnt(0)
	v_add_f64 v[20:21], v[20:21], v[22:23]
	v_fma_f64 v[22:23], v[223:224], s[24:25], -v[26:27]
	v_fma_f64 v[26:27], v[223:224], s[24:25], v[26:27]
	s_delay_alu instid0(VALU_DEP_2) | instskip(SKIP_1) | instid1(VALU_DEP_1)
	v_add_f64 v[14:15], v[22:23], v[14:15]
	v_fma_f64 v[22:23], v[225:226], s[24:25], v[32:33]
	v_add_f64 v[20:21], v[22:23], v[20:21]
	v_fma_f64 v[22:23], v[247:248], s[12:13], -v[38:39]
	s_delay_alu instid0(VALU_DEP_1) | instskip(SKIP_1) | instid1(VALU_DEP_1)
	v_add_f64 v[14:15], v[22:23], v[14:15]
	v_fma_f64 v[22:23], v[249:250], s[12:13], v[198:199]
	v_add_f64 v[20:21], v[22:23], v[20:21]
	v_fma_f64 v[22:23], v[10:11], s[28:29], -v[201:202]
	s_delay_alu instid0(VALU_DEP_1) | instskip(SKIP_1) | instid1(VALU_DEP_1)
	v_add_f64 v[14:15], v[22:23], v[14:15]
	v_fma_f64 v[22:23], v[12:13], s[28:29], v[205:206]
	v_add_f64 v[22:23], v[22:23], v[20:21]
	v_fma_f64 v[20:21], v[30:31], s[22:23], -v[213:214]
	s_delay_alu instid0(VALU_DEP_1) | instskip(SKIP_2) | instid1(VALU_DEP_2)
	v_add_f64 v[20:21], v[20:21], v[14:15]
	v_mul_f64 v[14:15], v[34:35], s[14:15]
	v_mul_f64 v[34:35], v[34:35], s[34:35]
	v_fma_f64 v[219:220], v[36:37], s[22:23], v[14:15]
	v_fma_f64 v[14:15], v[36:37], s[22:23], -v[14:15]
	s_delay_alu instid0(VALU_DEP_2)
	v_add_f64 v[22:23], v[219:220], v[22:23]
	scratch_load_b64 v[219:220], off, off offset:248 ; 8-byte Folded Reload
	s_waitcnt vmcnt(0)
	v_add_f64 v[8:9], v[8:9], v[219:220]
	scratch_load_b64 v[219:220], off, off offset:240 ; 8-byte Folded Reload
	v_add_f64 v[8:9], v[26:27], v[8:9]
	v_fma_f64 v[26:27], v[225:226], s[24:25], -v[32:33]
	scratch_load_b64 v[32:33], off, off offset:232 ; 8-byte Folded Reload
	s_waitcnt vmcnt(1)
	v_add_f64 v[24:25], v[24:25], v[219:220]
	s_delay_alu instid0(VALU_DEP_1) | instskip(SKIP_1) | instid1(VALU_DEP_1)
	v_add_f64 v[24:25], v[26:27], v[24:25]
	v_fma_f64 v[26:27], v[247:248], s[12:13], v[38:39]
	v_add_f64 v[8:9], v[26:27], v[8:9]
	v_fma_f64 v[26:27], v[249:250], s[12:13], -v[198:199]
	scratch_load_b64 v[198:199], off, off offset:224 ; 8-byte Folded Reload
	v_add_f64 v[24:25], v[26:27], v[24:25]
	v_fma_f64 v[26:27], v[10:11], s[28:29], v[201:202]
	s_delay_alu instid0(VALU_DEP_1) | instskip(SKIP_1) | instid1(VALU_DEP_1)
	v_add_f64 v[8:9], v[26:27], v[8:9]
	v_fma_f64 v[26:27], v[12:13], s[28:29], -v[205:206]
	v_add_f64 v[26:27], v[26:27], v[24:25]
	v_fma_f64 v[24:25], v[30:31], s[22:23], v[213:214]
	s_delay_alu instid0(VALU_DEP_2) | instskip(NEXT) | instid1(VALU_DEP_2)
	v_add_f64 v[26:27], v[14:15], v[26:27]
	v_add_f64 v[24:25], v[24:25], v[8:9]
	v_mul_f64 v[8:9], v[215:216], s[36:37]
	s_delay_alu instid0(VALU_DEP_1) | instskip(SKIP_2) | instid1(VALU_DEP_2)
	v_fma_f64 v[14:15], v[207:208], s[28:29], -v[8:9]
	v_fma_f64 v[8:9], v[207:208], s[28:29], v[8:9]
	s_waitcnt vmcnt(1)
	v_add_f64 v[14:15], v[14:15], v[32:33]
	v_mul_f64 v[32:33], v[217:218], s[36:37]
	s_delay_alu instid0(VALU_DEP_1) | instskip(SKIP_2) | instid1(VALU_DEP_2)
	v_fma_f64 v[38:39], v[209:210], s[28:29], v[32:33]
	v_fma_f64 v[32:33], v[209:210], s[28:29], -v[32:33]
	s_waitcnt vmcnt(0)
	v_add_f64 v[38:39], v[38:39], v[198:199]
	v_mul_f64 v[198:199], v[239:240], s[10:11]
	s_delay_alu instid0(VALU_DEP_1) | instskip(NEXT) | instid1(VALU_DEP_1)
	v_fma_f64 v[201:202], v[223:224], s[16:17], -v[198:199]
	v_add_f64 v[14:15], v[201:202], v[14:15]
	v_mul_f64 v[201:202], v[241:242], s[10:11]
	s_delay_alu instid0(VALU_DEP_1) | instskip(NEXT) | instid1(VALU_DEP_1)
	v_fma_f64 v[205:206], v[225:226], s[16:17], v[201:202]
	v_add_f64 v[38:39], v[205:206], v[38:39]
	v_fma_f64 v[205:206], v[247:248], s[24:25], -v[203:204]
	s_delay_alu instid0(VALU_DEP_1) | instskip(SKIP_1) | instid1(VALU_DEP_1)
	v_add_f64 v[14:15], v[205:206], v[14:15]
	v_mul_f64 v[205:206], v[211:212], s[42:43]
	v_fma_f64 v[211:212], v[249:250], s[24:25], v[205:206]
	s_delay_alu instid0(VALU_DEP_1) | instskip(SKIP_1) | instid1(VALU_DEP_1)
	v_add_f64 v[38:39], v[211:212], v[38:39]
	v_mul_f64 v[211:212], v[16:17], s[14:15]
	v_fma_f64 v[16:17], v[10:11], s[22:23], -v[211:212]
	v_fma_f64 v[10:11], v[10:11], s[22:23], v[211:212]
	s_delay_alu instid0(VALU_DEP_2) | instskip(SKIP_2) | instid1(VALU_DEP_2)
	v_add_f64 v[14:15], v[16:17], v[14:15]
	v_fma_f64 v[16:17], v[12:13], s[22:23], v[18:19]
	v_fma_f64 v[12:13], v[12:13], s[22:23], -v[18:19]
	v_add_f64 v[16:17], v[16:17], v[38:39]
	v_fma_f64 v[38:39], v[30:31], s[26:27], -v[28:29]
	v_fma_f64 v[28:29], v[30:31], s[26:27], v[28:29]
	v_fma_f64 v[30:31], v[36:37], s[26:27], -v[34:35]
	s_delay_alu instid0(VALU_DEP_3) | instskip(SKIP_1) | instid1(VALU_DEP_1)
	v_add_f64 v[14:15], v[38:39], v[14:15]
	v_fma_f64 v[38:39], v[36:37], s[26:27], v[34:35]
	v_add_f64 v[16:17], v[38:39], v[16:17]
	v_fma_f64 v[38:39], v[223:224], s[16:17], v[198:199]
	v_fma_f64 v[198:199], v[225:226], s[16:17], -v[201:202]
	scratch_load_b64 v[201:202], off, off offset:208 ; 8-byte Folded Reload
	s_waitcnt vmcnt(0)
	v_add_f64 v[8:9], v[8:9], v[201:202]
	scratch_load_b64 v[201:202], off, off offset:216 ; 8-byte Folded Reload
	v_add_f64 v[8:9], v[38:39], v[8:9]
	s_waitcnt vmcnt(0)
	v_add_f64 v[32:33], v[32:33], v[201:202]
	v_fma_f64 v[201:202], v[247:248], s[24:25], v[203:204]
	v_fma_f64 v[203:204], v[249:250], s[24:25], -v[205:206]
	s_delay_alu instid0(VALU_DEP_3) | instskip(NEXT) | instid1(VALU_DEP_3)
	v_add_f64 v[32:33], v[198:199], v[32:33]
	v_add_f64 v[8:9], v[201:202], v[8:9]
	s_delay_alu instid0(VALU_DEP_2) | instskip(NEXT) | instid1(VALU_DEP_2)
	v_add_f64 v[18:19], v[203:204], v[32:33]
	v_add_f64 v[8:9], v[10:11], v[8:9]
	s_delay_alu instid0(VALU_DEP_2)
	v_add_f64 v[10:11], v[12:13], v[18:19]
	s_clause 0x1
	scratch_load_b64 v[12:13], off, off offset:192
	scratch_load_b64 v[18:19], off, off offset:200
	v_add_f64 v[8:9], v[28:29], v[8:9]
	v_add_f64 v[10:11], v[30:31], v[10:11]
	s_waitcnt vmcnt(1)
	v_add_f64 v[12:13], v[12:13], v[154:155]
	s_waitcnt vmcnt(0)
	v_add_f64 v[18:19], v[18:19], v[156:157]
	s_delay_alu instid0(VALU_DEP_2) | instskip(NEXT) | instid1(VALU_DEP_2)
	v_add_f64 v[12:13], v[12:13], v[158:159]
	v_add_f64 v[18:19], v[18:19], v[160:161]
	s_delay_alu instid0(VALU_DEP_2) | instskip(NEXT) | instid1(VALU_DEP_2)
	v_add_f64 v[12:13], v[12:13], v[162:163]
	;; [unrolled: 3-line block ×10, first 2 shown]
	v_add_f64 v[156:157], v[18:19], v[194:195]
	ds_store_b128 v255, v[227:230] offset:1248
	ds_store_b128 v255, v[235:238] offset:1872
	;; [unrolled: 1-line block ×12, first 2 shown]
	ds_store_b128 v255, v[154:157]
	scratch_load_b32 v29, off, off offset:188 ; 4-byte Folded Reload
	v_add_co_u32 v24, s0, 0x1fb0, v222
	s_waitcnt vmcnt(0) lgkmcnt(0)
	s_waitcnt_vscnt null, 0x0
	s_barrier
	buffer_gl0_inv
	v_add_co_ci_u32_e64 v25, s0, 0, v29, s0
	s_clause 0x1
	global_load_b128 v[0:3], v[152:153], off offset:4016
	global_load_b128 v[4:7], v[24:25], off offset:624
	ds_load_b128 v[8:11], v255
	ds_load_b128 v[12:15], v255 offset:624
	v_add_co_u32 v28, s0, 0x3000, v222
	s_delay_alu instid0(VALU_DEP_1) | instskip(SKIP_3) | instid1(VALU_DEP_2)
	v_add_co_ci_u32_e64 v29, s0, 0, v29, s0
	s_waitcnt vmcnt(1) lgkmcnt(1)
	v_mul_f64 v[16:17], v[10:11], v[2:3]
	v_mul_f64 v[2:3], v[8:9], v[2:3]
	v_fma_f64 v[148:149], v[8:9], v[0:1], -v[16:17]
	s_delay_alu instid0(VALU_DEP_2) | instskip(SKIP_3) | instid1(VALU_DEP_2)
	v_fma_f64 v[150:151], v[10:11], v[0:1], v[2:3]
	s_waitcnt vmcnt(0) lgkmcnt(0)
	v_mul_f64 v[0:1], v[14:15], v[6:7]
	v_mul_f64 v[2:3], v[12:13], v[6:7]
	v_fma_f64 v[152:153], v[12:13], v[4:5], -v[0:1]
	s_delay_alu instid0(VALU_DEP_2)
	v_fma_f64 v[154:155], v[14:15], v[4:5], v[2:3]
	s_clause 0x1
	global_load_b128 v[0:3], v[24:25], off offset:1248
	global_load_b128 v[4:7], v[24:25], off offset:1872
	ds_load_b128 v[8:11], v255 offset:1248
	ds_load_b128 v[12:15], v255 offset:1872
	s_waitcnt vmcnt(1) lgkmcnt(1)
	v_mul_f64 v[16:17], v[10:11], v[2:3]
	v_mul_f64 v[2:3], v[8:9], v[2:3]
	s_delay_alu instid0(VALU_DEP_2) | instskip(NEXT) | instid1(VALU_DEP_2)
	v_fma_f64 v[8:9], v[8:9], v[0:1], -v[16:17]
	v_fma_f64 v[10:11], v[10:11], v[0:1], v[2:3]
	s_waitcnt vmcnt(0) lgkmcnt(0)
	v_mul_f64 v[0:1], v[14:15], v[6:7]
	v_mul_f64 v[2:3], v[12:13], v[6:7]
	s_delay_alu instid0(VALU_DEP_2) | instskip(NEXT) | instid1(VALU_DEP_2)
	v_fma_f64 v[0:1], v[12:13], v[4:5], -v[0:1]
	v_fma_f64 v[2:3], v[14:15], v[4:5], v[2:3]
	s_clause 0x1
	global_load_b128 v[4:7], v[24:25], off offset:2496
	global_load_b128 v[12:15], v[24:25], off offset:3120
	ds_load_b128 v[16:19], v255 offset:2496
	ds_load_b128 v[20:23], v255 offset:3120
	s_waitcnt vmcnt(1) lgkmcnt(1)
	v_mul_f64 v[26:27], v[18:19], v[6:7]
	v_mul_f64 v[6:7], v[16:17], v[6:7]
	s_delay_alu instid0(VALU_DEP_2) | instskip(NEXT) | instid1(VALU_DEP_2)
	v_fma_f64 v[16:17], v[16:17], v[4:5], -v[26:27]
	v_fma_f64 v[18:19], v[18:19], v[4:5], v[6:7]
	s_waitcnt vmcnt(0) lgkmcnt(0)
	v_mul_f64 v[4:5], v[22:23], v[14:15]
	v_mul_f64 v[6:7], v[20:21], v[14:15]
	s_delay_alu instid0(VALU_DEP_2) | instskip(NEXT) | instid1(VALU_DEP_2)
	v_fma_f64 v[4:5], v[20:21], v[12:13], -v[4:5]
	;; [unrolled: 17-line block ×5, first 2 shown]
	v_fma_f64 v[158:159], v[174:175], v[164:165], v[32:33]
	global_load_b128 v[164:167], v[28:29], off offset:3312
	ds_load_b128 v[172:175], v255 offset:7488
	s_waitcnt vmcnt(0) lgkmcnt(0)
	v_mul_f64 v[28:29], v[174:175], v[166:167]
	v_mul_f64 v[30:31], v[172:173], v[166:167]
	s_delay_alu instid0(VALU_DEP_2) | instskip(NEXT) | instid1(VALU_DEP_2)
	v_fma_f64 v[172:173], v[172:173], v[164:165], -v[28:29]
	v_fma_f64 v[174:175], v[174:175], v[164:165], v[30:31]
	ds_store_b128 v255, v[148:151]
	ds_store_b128 v255, v[152:155] offset:624
	ds_store_b128 v255, v[8:11] offset:1248
	;; [unrolled: 1-line block ×12, first 2 shown]
	s_waitcnt lgkmcnt(0)
	s_barrier
	buffer_gl0_inv
	ds_load_b128 v[148:151], v255
	ds_load_b128 v[152:155], v255 offset:624
	ds_load_b128 v[156:159], v255 offset:1248
	;; [unrolled: 1-line block ×7, first 2 shown]
	s_waitcnt lgkmcnt(6)
	v_add_f64 v[0:1], v[148:149], v[152:153]
	v_add_f64 v[2:3], v[150:151], v[154:155]
	s_waitcnt lgkmcnt(0)
	v_add_f64 v[188:189], v[174:175], v[178:179]
	v_add_f64 v[190:191], v[174:175], -v[178:179]
	s_delay_alu instid0(VALU_DEP_4) | instskip(NEXT) | instid1(VALU_DEP_4)
	v_add_f64 v[0:1], v[0:1], v[156:157]
	v_add_f64 v[2:3], v[2:3], v[158:159]
	s_delay_alu instid0(VALU_DEP_2) | instskip(NEXT) | instid1(VALU_DEP_2)
	v_add_f64 v[0:1], v[0:1], v[160:161]
	v_add_f64 v[2:3], v[2:3], v[162:163]
	s_delay_alu instid0(VALU_DEP_2) | instskip(NEXT) | instid1(VALU_DEP_2)
	;; [unrolled: 3-line block ×4, first 2 shown]
	v_add_f64 v[4:5], v[0:1], v[172:173]
	v_add_f64 v[6:7], v[2:3], v[174:175]
	;; [unrolled: 1-line block ×3, first 2 shown]
	v_add_f64 v[2:3], v[172:173], -v[176:177]
	s_delay_alu instid0(VALU_DEP_4) | instskip(NEXT) | instid1(VALU_DEP_4)
	v_add_f64 v[16:17], v[4:5], v[176:177]
	v_add_f64 v[18:19], v[6:7], v[178:179]
	ds_load_b128 v[4:7], v255 offset:4992
	ds_load_b128 v[12:15], v255 offset:5616
	s_waitcnt lgkmcnt(1)
	v_add_f64 v[172:173], v[168:169], v[4:5]
	v_add_f64 v[8:9], v[170:171], v[6:7]
	v_add_f64 v[168:169], v[168:169], -v[4:5]
	v_add_f64 v[10:11], v[170:171], -v[6:7]
	s_waitcnt lgkmcnt(0)
	v_add_f64 v[192:193], v[166:167], v[14:15]
	v_add_f64 v[198:199], v[166:167], -v[14:15]
	v_add_f64 v[16:17], v[16:17], v[4:5]
	v_add_f64 v[18:19], v[18:19], v[6:7]
	v_add_f64 v[4:5], v[164:165], v[12:13]
	v_add_f64 v[6:7], v[164:165], -v[12:13]
	s_delay_alu instid0(VALU_DEP_4) | instskip(NEXT) | instid1(VALU_DEP_4)
	v_add_f64 v[20:21], v[16:17], v[12:13]
	v_add_f64 v[22:23], v[18:19], v[14:15]
	ds_load_b128 v[12:15], v255 offset:6240
	ds_load_b128 v[16:19], v255 offset:6864
	s_waitcnt lgkmcnt(1)
	v_add_f64 v[164:165], v[160:161], v[12:13]
	v_add_f64 v[201:202], v[162:163], v[14:15]
	v_add_f64 v[160:161], v[160:161], -v[12:13]
	v_add_f64 v[203:204], v[162:163], -v[14:15]
	s_waitcnt lgkmcnt(0)
	v_add_f64 v[162:163], v[156:157], v[16:17]
	v_add_f64 v[205:206], v[158:159], v[18:19]
	v_add_f64 v[166:167], v[156:157], -v[16:17]
	v_add_f64 v[207:208], v[158:159], -v[18:19]
	v_add_f64 v[12:13], v[20:21], v[12:13]
	v_add_f64 v[14:15], v[22:23], v[14:15]
	s_delay_alu instid0(VALU_DEP_2) | instskip(NEXT) | instid1(VALU_DEP_2)
	v_add_f64 v[16:17], v[12:13], v[16:17]
	v_add_f64 v[18:19], v[14:15], v[18:19]
	ds_load_b128 v[12:15], v255 offset:7488
	s_waitcnt lgkmcnt(0)
	s_barrier
	buffer_gl0_inv
	v_add_f64 v[20:21], v[154:155], -v[14:15]
	v_add_f64 v[22:23], v[152:153], v[12:13]
	v_add_f64 v[24:25], v[154:155], v[14:15]
	v_add_f64 v[26:27], v[152:153], -v[12:13]
	v_add_f64 v[152:153], v[16:17], v[12:13]
	v_add_f64 v[154:155], v[18:19], v[14:15]
	v_mul_f64 v[12:13], v[20:21], s[30:31]
	v_mul_f64 v[14:15], v[20:21], s[18:19]
	;; [unrolled: 1-line block ×10, first 2 shown]
	v_fma_f64 v[30:31], v[22:23], s[28:29], v[12:13]
	v_fma_f64 v[12:13], v[22:23], s[28:29], -v[12:13]
	v_fma_f64 v[32:33], v[22:23], s[24:25], v[14:15]
	v_fma_f64 v[14:15], v[22:23], s[24:25], -v[14:15]
	;; [unrolled: 2-line block ×6, first 2 shown]
	v_mul_f64 v[22:23], v[24:25], s[28:29]
	v_mul_f64 v[24:25], v[24:25], s[12:13]
	v_fma_f64 v[196:197], v[26:27], s[38:39], v[176:177]
	v_fma_f64 v[180:181], v[26:27], s[42:43], v[158:159]
	v_fma_f64 v[158:159], v[26:27], s[18:19], v[158:159]
	v_fma_f64 v[182:183], v[26:27], s[34:35], v[170:171]
	v_fma_f64 v[184:185], v[26:27], s[20:21], v[170:171]
	v_fma_f64 v[186:187], v[26:27], s[40:41], v[174:175]
	v_fma_f64 v[194:195], v[26:27], s[14:15], v[174:175]
	v_fma_f64 v[176:177], v[26:27], s[10:11], v[176:177]
	v_add_f64 v[170:171], v[148:149], v[12:13]
	v_add_f64 v[215:216], v[148:149], v[14:15]
	;; [unrolled: 1-line block ×9, first 2 shown]
	v_mul_f64 v[28:29], v[190:191], s[8:9]
	v_fma_f64 v[178:179], v[26:27], s[36:37], v[22:23]
	v_fma_f64 v[22:23], v[26:27], s[30:31], v[22:23]
	;; [unrolled: 1-line block ×4, first 2 shown]
	v_add_f64 v[26:27], v[148:149], v[30:31]
	v_add_f64 v[232:233], v[150:151], v[196:197]
	;; [unrolled: 1-line block ×9, first 2 shown]
	v_mul_f64 v[176:177], v[203:204], s[20:21]
	v_mul_f64 v[182:183], v[192:193], s[22:23]
	;; [unrolled: 1-line block ×4, first 2 shown]
	v_add_f64 v[30:31], v[150:151], v[178:179]
	v_add_f64 v[174:175], v[150:151], v[22:23]
	;; [unrolled: 1-line block ×3, first 2 shown]
	v_mul_f64 v[148:149], v[207:208], s[18:19]
	v_add_f64 v[32:33], v[150:151], v[180:181]
	v_add_f64 v[12:13], v[150:151], v[213:214]
	;; [unrolled: 1-line block ×3, first 2 shown]
	v_mul_f64 v[150:151], v[205:206], s[24:25]
	v_mul_f64 v[178:179], v[201:202], s[26:27]
	;; [unrolled: 1-line block ×4, first 2 shown]
	v_fma_f64 v[20:21], v[164:165], s[26:27], v[176:177]
	v_fma_f64 v[16:17], v[162:163], s[24:25], v[148:149]
	;; [unrolled: 1-line block ×3, first 2 shown]
	s_delay_alu instid0(VALU_DEP_2) | instskip(SKIP_2) | instid1(VALU_DEP_4)
	v_add_f64 v[16:17], v[16:17], v[26:27]
	v_fma_f64 v[26:27], v[164:165], s[12:13], v[24:25]
	v_fma_f64 v[24:25], v[164:165], s[12:13], -v[24:25]
	v_add_f64 v[18:19], v[18:19], v[30:31]
	v_mul_f64 v[30:31], v[188:189], s[12:13]
	v_add_f64 v[16:17], v[20:21], v[16:17]
	v_fma_f64 v[20:21], v[160:161], s[34:35], v[178:179]
	s_delay_alu instid0(VALU_DEP_1) | instskip(SKIP_1) | instid1(VALU_DEP_1)
	v_add_f64 v[18:19], v[20:21], v[18:19]
	v_fma_f64 v[20:21], v[4:5], s[22:23], v[180:181]
	v_add_f64 v[16:17], v[20:21], v[16:17]
	v_fma_f64 v[20:21], v[6:7], s[40:41], v[182:183]
	s_delay_alu instid0(VALU_DEP_1) | instskip(SKIP_1) | instid1(VALU_DEP_1)
	v_add_f64 v[18:19], v[20:21], v[18:19]
	v_fma_f64 v[20:21], v[172:173], s[16:17], v[184:185]
	;; [unrolled: 5-line block ×3, first 2 shown]
	v_add_f64 v[156:157], v[20:21], v[16:17]
	v_fma_f64 v[16:17], v[2:3], s[44:45], v[30:31]
	v_mul_f64 v[20:21], v[207:208], s[14:15]
	s_delay_alu instid0(VALU_DEP_2) | instskip(NEXT) | instid1(VALU_DEP_2)
	v_add_f64 v[158:159], v[16:17], v[18:19]
	v_fma_f64 v[16:17], v[162:163], s[22:23], v[20:21]
	v_fma_f64 v[20:21], v[162:163], s[22:23], -v[20:21]
	s_delay_alu instid0(VALU_DEP_2) | instskip(SKIP_1) | instid1(VALU_DEP_3)
	v_add_f64 v[16:17], v[16:17], v[22:23]
	v_mul_f64 v[22:23], v[205:206], s[22:23]
	v_add_f64 v[20:21], v[20:21], v[215:216]
	s_delay_alu instid0(VALU_DEP_3) | instskip(NEXT) | instid1(VALU_DEP_3)
	v_add_f64 v[16:17], v[26:27], v[16:17]
	v_fma_f64 v[18:19], v[166:167], s[40:41], v[22:23]
	v_mul_f64 v[26:27], v[201:202], s[12:13]
	v_fma_f64 v[22:23], v[166:167], s[14:15], v[22:23]
	v_add_f64 v[20:21], v[24:25], v[20:21]
	s_delay_alu instid0(VALU_DEP_4) | instskip(NEXT) | instid1(VALU_DEP_4)
	v_add_f64 v[18:19], v[18:19], v[32:33]
	v_fma_f64 v[32:33], v[160:161], s[44:45], v[26:27]
	s_delay_alu instid0(VALU_DEP_4) | instskip(SKIP_1) | instid1(VALU_DEP_3)
	v_add_f64 v[22:23], v[22:23], v[217:218]
	v_fma_f64 v[24:25], v[160:161], s[8:9], v[26:27]
	v_add_f64 v[18:19], v[32:33], v[18:19]
	v_mul_f64 v[32:33], v[198:199], s[38:39]
	s_delay_alu instid0(VALU_DEP_3) | instskip(NEXT) | instid1(VALU_DEP_2)
	v_add_f64 v[22:23], v[24:25], v[22:23]
	v_fma_f64 v[213:214], v[4:5], s[16:17], v[32:33]
	v_fma_f64 v[24:25], v[4:5], s[16:17], -v[32:33]
	v_mul_f64 v[32:33], v[207:208], s[8:9]
	s_delay_alu instid0(VALU_DEP_3) | instskip(SKIP_1) | instid1(VALU_DEP_4)
	v_add_f64 v[16:17], v[213:214], v[16:17]
	v_mul_f64 v[213:214], v[192:193], s[16:17]
	v_add_f64 v[20:21], v[24:25], v[20:21]
	s_delay_alu instid0(VALU_DEP_2) | instskip(SKIP_2) | instid1(VALU_DEP_3)
	v_fma_f64 v[234:235], v[6:7], s[10:11], v[213:214]
	v_fma_f64 v[24:25], v[6:7], s[38:39], v[213:214]
	v_mul_f64 v[213:214], v[203:204], s[40:41]
	v_add_f64 v[18:19], v[234:235], v[18:19]
	v_mul_f64 v[234:235], v[10:11], s[34:35]
	s_delay_alu instid0(VALU_DEP_4) | instskip(NEXT) | instid1(VALU_DEP_4)
	v_add_f64 v[22:23], v[24:25], v[22:23]
	v_fma_f64 v[215:216], v[164:165], s[22:23], v[213:214]
	v_fma_f64 v[213:214], v[164:165], s[22:23], -v[213:214]
	s_delay_alu instid0(VALU_DEP_4) | instskip(SKIP_1) | instid1(VALU_DEP_2)
	v_fma_f64 v[236:237], v[172:173], s[26:27], v[234:235]
	v_fma_f64 v[24:25], v[172:173], s[26:27], -v[234:235]
	v_add_f64 v[16:17], v[236:237], v[16:17]
	v_mul_f64 v[236:237], v[8:9], s[26:27]
	s_delay_alu instid0(VALU_DEP_3) | instskip(NEXT) | instid1(VALU_DEP_2)
	v_add_f64 v[20:21], v[24:25], v[20:21]
	v_fma_f64 v[238:239], v[168:169], s[20:21], v[236:237]
	v_fma_f64 v[24:25], v[168:169], s[34:35], v[236:237]
	s_delay_alu instid0(VALU_DEP_2) | instskip(SKIP_1) | instid1(VALU_DEP_3)
	v_add_f64 v[18:19], v[238:239], v[18:19]
	v_mul_f64 v[238:239], v[190:191], s[36:37]
	v_add_f64 v[22:23], v[24:25], v[22:23]
	s_delay_alu instid0(VALU_DEP_2) | instskip(SKIP_1) | instid1(VALU_DEP_2)
	v_fma_f64 v[240:241], v[0:1], s[28:29], v[238:239]
	v_fma_f64 v[24:25], v[0:1], s[28:29], -v[238:239]
	v_add_f64 v[16:17], v[240:241], v[16:17]
	v_mul_f64 v[240:241], v[188:189], s[28:29]
	s_delay_alu instid0(VALU_DEP_3) | instskip(SKIP_2) | instid1(VALU_DEP_4)
	v_add_f64 v[20:21], v[24:25], v[20:21]
	v_fma_f64 v[24:25], v[162:163], s[12:13], v[32:33]
	v_fma_f64 v[32:33], v[162:163], s[12:13], -v[32:33]
	v_fma_f64 v[26:27], v[2:3], s[36:37], v[240:241]
	v_fma_f64 v[242:243], v[2:3], s[30:31], v[240:241]
	s_delay_alu instid0(VALU_DEP_4)
	v_add_f64 v[24:25], v[24:25], v[34:35]
	v_mul_f64 v[34:35], v[205:206], s[12:13]
	v_add_f64 v[32:33], v[32:33], v[222:223]
	v_mul_f64 v[222:223], v[203:204], s[36:37]
	v_add_f64 v[22:23], v[26:27], v[22:23]
	v_add_f64 v[18:19], v[242:243], v[18:19]
	;; [unrolled: 1-line block ×3, first 2 shown]
	v_fma_f64 v[26:27], v[166:167], s[44:45], v[34:35]
	v_mul_f64 v[215:216], v[201:202], s[22:23]
	v_fma_f64 v[34:35], v[166:167], s[8:9], v[34:35]
	v_add_f64 v[32:33], v[213:214], v[32:33]
	s_delay_alu instid0(VALU_DEP_4) | instskip(NEXT) | instid1(VALU_DEP_4)
	v_add_f64 v[26:27], v[26:27], v[219:220]
	v_fma_f64 v[217:218], v[160:161], s[14:15], v[215:216]
	s_delay_alu instid0(VALU_DEP_4) | instskip(SKIP_2) | instid1(VALU_DEP_4)
	v_add_f64 v[34:35], v[34:35], v[224:225]
	v_fma_f64 v[213:214], v[160:161], s[40:41], v[215:216]
	v_mul_f64 v[224:225], v[201:202], s[28:29]
	v_add_f64 v[26:27], v[217:218], v[26:27]
	v_mul_f64 v[217:218], v[198:199], s[36:37]
	s_delay_alu instid0(VALU_DEP_4) | instskip(NEXT) | instid1(VALU_DEP_2)
	v_add_f64 v[34:35], v[213:214], v[34:35]
	v_fma_f64 v[219:220], v[4:5], s[28:29], v[217:218]
	v_fma_f64 v[213:214], v[4:5], s[28:29], -v[217:218]
	s_delay_alu instid0(VALU_DEP_2) | instskip(SKIP_1) | instid1(VALU_DEP_3)
	v_add_f64 v[24:25], v[219:220], v[24:25]
	v_mul_f64 v[219:220], v[192:193], s[28:29]
	v_add_f64 v[32:33], v[213:214], v[32:33]
	s_delay_alu instid0(VALU_DEP_2) | instskip(SKIP_3) | instid1(VALU_DEP_4)
	v_fma_f64 v[234:235], v[6:7], s[30:31], v[219:220]
	v_fma_f64 v[213:214], v[6:7], s[36:37], v[219:220]
	;; [unrolled: 1-line block ×3, first 2 shown]
	v_fma_f64 v[222:223], v[164:165], s[28:29], -v[222:223]
	v_add_f64 v[26:27], v[234:235], v[26:27]
	v_mul_f64 v[234:235], v[10:11], s[18:19]
	v_add_f64 v[34:35], v[213:214], v[34:35]
	s_delay_alu instid0(VALU_DEP_2) | instskip(SKIP_2) | instid1(VALU_DEP_3)
	v_fma_f64 v[236:237], v[172:173], s[24:25], v[234:235]
	v_fma_f64 v[213:214], v[172:173], s[24:25], -v[234:235]
	v_mul_f64 v[234:235], v[192:193], s[26:27]
	v_add_f64 v[24:25], v[236:237], v[24:25]
	v_mul_f64 v[236:237], v[8:9], s[24:25]
	s_delay_alu instid0(VALU_DEP_4) | instskip(NEXT) | instid1(VALU_DEP_2)
	v_add_f64 v[32:33], v[213:214], v[32:33]
	v_fma_f64 v[238:239], v[168:169], s[42:43], v[236:237]
	v_fma_f64 v[213:214], v[168:169], s[18:19], v[236:237]
	v_mul_f64 v[236:237], v[10:11], s[44:45]
	s_delay_alu instid0(VALU_DEP_3) | instskip(SKIP_1) | instid1(VALU_DEP_4)
	v_add_f64 v[26:27], v[238:239], v[26:27]
	v_mul_f64 v[238:239], v[190:191], s[10:11]
	v_add_f64 v[34:35], v[213:214], v[34:35]
	s_delay_alu instid0(VALU_DEP_2) | instskip(SKIP_2) | instid1(VALU_DEP_3)
	v_fma_f64 v[240:241], v[0:1], s[16:17], v[238:239]
	v_fma_f64 v[213:214], v[0:1], s[16:17], -v[238:239]
	v_mul_f64 v[238:239], v[8:9], s[12:13]
	v_add_f64 v[24:25], v[240:241], v[24:25]
	v_mul_f64 v[240:241], v[188:189], s[16:17]
	s_delay_alu instid0(VALU_DEP_4) | instskip(SKIP_1) | instid1(VALU_DEP_3)
	v_add_f64 v[213:214], v[213:214], v[32:33]
	v_mul_f64 v[32:33], v[207:208], s[38:39]
	v_fma_f64 v[215:216], v[2:3], s[10:11], v[240:241]
	v_fma_f64 v[242:243], v[2:3], s[38:39], v[240:241]
	v_mul_f64 v[240:241], v[190:191], s[42:43]
	s_delay_alu instid0(VALU_DEP_3) | instskip(SKIP_3) | instid1(VALU_DEP_3)
	v_add_f64 v[215:216], v[215:216], v[34:35]
	v_fma_f64 v[34:35], v[162:163], s[16:17], v[32:33]
	v_fma_f64 v[32:33], v[162:163], s[16:17], -v[32:33]
	v_add_f64 v[26:27], v[242:243], v[26:27]
	v_add_f64 v[34:35], v[34:35], v[36:37]
	v_mul_f64 v[36:37], v[205:206], s[16:17]
	s_delay_alu instid0(VALU_DEP_4) | instskip(NEXT) | instid1(VALU_DEP_3)
	v_add_f64 v[32:33], v[32:33], v[228:229]
	v_add_f64 v[34:35], v[219:220], v[34:35]
	s_delay_alu instid0(VALU_DEP_3)
	v_fma_f64 v[217:218], v[166:167], s[10:11], v[36:37]
	v_fma_f64 v[219:220], v[160:161], s[30:31], v[224:225]
	;; [unrolled: 1-line block ×3, first 2 shown]
	v_add_f64 v[32:33], v[222:223], v[32:33]
	v_fma_f64 v[222:223], v[160:161], s[36:37], v[224:225]
	v_add_f64 v[217:218], v[217:218], v[226:227]
	v_mul_f64 v[226:227], v[198:199], s[20:21]
	v_add_f64 v[36:37], v[36:37], v[230:231]
	v_mul_f64 v[230:231], v[203:204], s[18:19]
	s_delay_alu instid0(VALU_DEP_4) | instskip(NEXT) | instid1(VALU_DEP_4)
	v_add_f64 v[217:218], v[219:220], v[217:218]
	v_fma_f64 v[219:220], v[4:5], s[26:27], v[226:227]
	s_delay_alu instid0(VALU_DEP_4) | instskip(SKIP_2) | instid1(VALU_DEP_4)
	v_add_f64 v[36:37], v[222:223], v[36:37]
	v_fma_f64 v[222:223], v[4:5], s[26:27], -v[226:227]
	v_fma_f64 v[226:227], v[164:165], s[24:25], v[230:231]
	v_add_f64 v[34:35], v[219:220], v[34:35]
	v_fma_f64 v[219:220], v[6:7], s[34:35], v[234:235]
	s_delay_alu instid0(VALU_DEP_4)
	v_add_f64 v[32:33], v[222:223], v[32:33]
	v_fma_f64 v[222:223], v[6:7], s[20:21], v[234:235]
	v_mul_f64 v[234:235], v[198:199], s[44:45]
	v_mul_f64 v[198:199], v[198:199], s[42:43]
	v_add_f64 v[217:218], v[219:220], v[217:218]
	v_fma_f64 v[219:220], v[172:173], s[12:13], v[236:237]
	v_add_f64 v[36:37], v[222:223], v[36:37]
	v_fma_f64 v[222:223], v[172:173], s[12:13], -v[236:237]
	v_mul_f64 v[236:237], v[192:193], s[12:13]
	v_mul_f64 v[192:193], v[192:193], s[24:25]
	v_add_f64 v[34:35], v[219:220], v[34:35]
	v_fma_f64 v[219:220], v[168:169], s[8:9], v[238:239]
	v_add_f64 v[32:33], v[222:223], v[32:33]
	v_fma_f64 v[222:223], v[168:169], s[44:45], v[238:239]
	v_mul_f64 v[238:239], v[10:11], s[36:37]
	s_delay_alu instid0(VALU_DEP_4) | instskip(SKIP_1) | instid1(VALU_DEP_4)
	v_add_f64 v[219:220], v[219:220], v[217:218]
	v_fma_f64 v[217:218], v[0:1], s[24:25], v[240:241]
	v_add_f64 v[36:37], v[222:223], v[36:37]
	v_fma_f64 v[222:223], v[0:1], s[24:25], -v[240:241]
	v_mul_f64 v[240:241], v[8:9], s[28:29]
	s_delay_alu instid0(VALU_DEP_4) | instskip(SKIP_1) | instid1(VALU_DEP_4)
	v_add_f64 v[217:218], v[217:218], v[34:35]
	v_mul_f64 v[34:35], v[188:189], s[24:25]
	v_add_f64 v[222:223], v[222:223], v[32:33]
	v_mul_f64 v[32:33], v[207:208], s[34:35]
	s_delay_alu instid0(VALU_DEP_3) | instskip(SKIP_1) | instid1(VALU_DEP_2)
	v_fma_f64 v[242:243], v[2:3], s[18:19], v[34:35]
	v_fma_f64 v[34:35], v[2:3], s[42:43], v[34:35]
	v_add_f64 v[219:220], v[242:243], v[219:220]
	s_delay_alu instid0(VALU_DEP_2)
	v_add_f64 v[224:225], v[34:35], v[36:37]
	v_fma_f64 v[34:35], v[162:163], s[26:27], v[32:33]
	v_mul_f64 v[36:37], v[205:206], s[26:27]
	v_mul_f64 v[242:243], v[190:191], s[14:15]
	v_fma_f64 v[32:33], v[162:163], s[26:27], -v[32:33]
	v_mul_f64 v[190:191], v[190:191], s[34:35]
	v_add_f64 v[34:35], v[34:35], v[38:39]
	v_fma_f64 v[38:39], v[166:167], s[20:21], v[36:37]
	v_fma_f64 v[36:37], v[166:167], s[34:35], v[36:37]
	v_add_f64 v[32:33], v[32:33], v[211:212]
	s_delay_alu instid0(VALU_DEP_4) | instskip(NEXT) | instid1(VALU_DEP_4)
	v_add_f64 v[34:35], v[226:227], v[34:35]
	v_add_f64 v[38:39], v[38:39], v[232:233]
	v_mul_f64 v[232:233], v[201:202], s[24:25]
	v_add_f64 v[36:37], v[36:37], v[209:210]
	s_delay_alu instid0(VALU_DEP_2) | instskip(NEXT) | instid1(VALU_DEP_1)
	v_fma_f64 v[226:227], v[160:161], s[42:43], v[232:233]
	v_add_f64 v[38:39], v[226:227], v[38:39]
	v_fma_f64 v[226:227], v[4:5], s[12:13], v[234:235]
	s_delay_alu instid0(VALU_DEP_1) | instskip(SKIP_1) | instid1(VALU_DEP_1)
	v_add_f64 v[34:35], v[226:227], v[34:35]
	v_fma_f64 v[226:227], v[6:7], s[8:9], v[236:237]
	v_add_f64 v[38:39], v[226:227], v[38:39]
	v_fma_f64 v[226:227], v[172:173], s[28:29], v[238:239]
	s_delay_alu instid0(VALU_DEP_1) | instskip(SKIP_1) | instid1(VALU_DEP_1)
	v_add_f64 v[34:35], v[226:227], v[34:35]
	v_fma_f64 v[226:227], v[168:169], s[30:31], v[240:241]
	v_add_f64 v[38:39], v[226:227], v[38:39]
	v_fma_f64 v[226:227], v[0:1], s[22:23], v[242:243]
	s_delay_alu instid0(VALU_DEP_1) | instskip(SKIP_2) | instid1(VALU_DEP_2)
	v_add_f64 v[226:227], v[226:227], v[34:35]
	v_mul_f64 v[34:35], v[188:189], s[22:23]
	v_mul_f64 v[188:189], v[188:189], s[26:27]
	v_fma_f64 v[228:229], v[2:3], s[40:41], v[34:35]
	v_fma_f64 v[34:35], v[2:3], s[14:15], v[34:35]
	s_delay_alu instid0(VALU_DEP_2) | instskip(SKIP_1) | instid1(VALU_DEP_1)
	v_add_f64 v[228:229], v[228:229], v[38:39]
	v_fma_f64 v[38:39], v[164:165], s[24:25], -v[230:231]
	v_add_f64 v[32:33], v[38:39], v[32:33]
	v_fma_f64 v[38:39], v[160:161], s[18:19], v[232:233]
	s_delay_alu instid0(VALU_DEP_1) | instskip(SKIP_1) | instid1(VALU_DEP_1)
	v_add_f64 v[36:37], v[38:39], v[36:37]
	v_fma_f64 v[38:39], v[4:5], s[12:13], -v[234:235]
	v_add_f64 v[32:33], v[38:39], v[32:33]
	v_fma_f64 v[38:39], v[6:7], s[44:45], v[236:237]
	s_delay_alu instid0(VALU_DEP_1) | instskip(SKIP_1) | instid1(VALU_DEP_1)
	v_add_f64 v[36:37], v[38:39], v[36:37]
	v_fma_f64 v[38:39], v[172:173], s[28:29], -v[238:239]
	v_add_f64 v[32:33], v[38:39], v[32:33]
	v_fma_f64 v[38:39], v[168:169], s[36:37], v[240:241]
	s_delay_alu instid0(VALU_DEP_1) | instskip(SKIP_1) | instid1(VALU_DEP_2)
	v_add_f64 v[36:37], v[38:39], v[36:37]
	v_fma_f64 v[38:39], v[0:1], s[22:23], -v[242:243]
	v_add_f64 v[211:212], v[34:35], v[36:37]
	s_delay_alu instid0(VALU_DEP_2) | instskip(SKIP_1) | instid1(VALU_DEP_1)
	v_add_f64 v[209:210], v[38:39], v[32:33]
	v_mul_f64 v[32:33], v[207:208], s[36:37]
	v_fma_f64 v[34:35], v[162:163], s[28:29], v[32:33]
	s_delay_alu instid0(VALU_DEP_1) | instskip(SKIP_1) | instid1(VALU_DEP_1)
	v_add_f64 v[14:15], v[34:35], v[14:15]
	v_mul_f64 v[34:35], v[205:206], s[28:29]
	v_fma_f64 v[36:37], v[166:167], s[30:31], v[34:35]
	s_delay_alu instid0(VALU_DEP_1) | instskip(SKIP_1) | instid1(VALU_DEP_1)
	v_add_f64 v[12:13], v[36:37], v[12:13]
	v_mul_f64 v[36:37], v[203:204], s[10:11]
	v_fma_f64 v[38:39], v[164:165], s[16:17], v[36:37]
	s_delay_alu instid0(VALU_DEP_1) | instskip(SKIP_1) | instid1(VALU_DEP_1)
	v_add_f64 v[14:15], v[38:39], v[14:15]
	v_mul_f64 v[38:39], v[201:202], s[16:17]
	v_fma_f64 v[201:202], v[160:161], s[38:39], v[38:39]
	s_delay_alu instid0(VALU_DEP_1) | instskip(SKIP_1) | instid1(VALU_DEP_1)
	v_add_f64 v[12:13], v[201:202], v[12:13]
	v_fma_f64 v[201:202], v[4:5], s[24:25], v[198:199]
	v_add_f64 v[14:15], v[201:202], v[14:15]
	v_fma_f64 v[201:202], v[6:7], s[18:19], v[192:193]
	s_delay_alu instid0(VALU_DEP_1) | instskip(SKIP_1) | instid1(VALU_DEP_1)
	v_add_f64 v[12:13], v[201:202], v[12:13]
	v_mul_f64 v[201:202], v[10:11], s[14:15]
	v_fma_f64 v[10:11], v[172:173], s[22:23], v[201:202]
	s_delay_alu instid0(VALU_DEP_1) | instskip(SKIP_1) | instid1(VALU_DEP_1)
	v_add_f64 v[10:11], v[10:11], v[14:15]
	v_mul_f64 v[14:15], v[8:9], s[22:23]
	v_fma_f64 v[8:9], v[168:169], s[40:41], v[14:15]
	v_fma_f64 v[14:15], v[168:169], s[14:15], v[14:15]
	s_delay_alu instid0(VALU_DEP_2) | instskip(SKIP_1) | instid1(VALU_DEP_1)
	v_add_f64 v[12:13], v[8:9], v[12:13]
	v_fma_f64 v[8:9], v[0:1], s[26:27], v[190:191]
	v_add_f64 v[8:9], v[8:9], v[10:11]
	v_fma_f64 v[10:11], v[2:3], s[20:21], v[188:189]
	s_delay_alu instid0(VALU_DEP_1) | instskip(SKIP_4) | instid1(VALU_DEP_4)
	v_add_f64 v[10:11], v[10:11], v[12:13]
	v_fma_f64 v[12:13], v[162:163], s[28:29], -v[32:33]
	v_fma_f64 v[32:33], v[166:167], s[36:37], v[34:35]
	v_fma_f64 v[34:35], v[164:165], s[16:17], -v[36:37]
	v_fma_f64 v[36:37], v[164:165], s[26:27], -v[176:177]
	v_add_f64 v[12:13], v[12:13], v[196:197]
	s_delay_alu instid0(VALU_DEP_4) | instskip(NEXT) | instid1(VALU_DEP_2)
	v_add_f64 v[32:33], v[32:33], v[194:195]
	v_add_f64 v[12:13], v[34:35], v[12:13]
	v_fma_f64 v[34:35], v[160:161], s[10:11], v[38:39]
	v_fma_f64 v[38:39], v[160:161], s[20:21], v[178:179]
	s_delay_alu instid0(VALU_DEP_2) | instskip(SKIP_2) | instid1(VALU_DEP_2)
	v_add_f64 v[32:33], v[34:35], v[32:33]
	v_fma_f64 v[34:35], v[4:5], s[24:25], -v[198:199]
	v_fma_f64 v[4:5], v[4:5], s[22:23], -v[180:181]
	v_add_f64 v[12:13], v[34:35], v[12:13]
	v_fma_f64 v[34:35], v[6:7], s[42:43], v[192:193]
	v_fma_f64 v[6:7], v[6:7], s[14:15], v[182:183]
	s_delay_alu instid0(VALU_DEP_2) | instskip(SKIP_1) | instid1(VALU_DEP_2)
	v_add_f64 v[32:33], v[34:35], v[32:33]
	v_fma_f64 v[34:35], v[172:173], s[22:23], -v[201:202]
	v_add_f64 v[14:15], v[14:15], v[32:33]
	s_delay_alu instid0(VALU_DEP_2) | instskip(SKIP_4) | instid1(VALU_DEP_4)
	v_add_f64 v[12:13], v[34:35], v[12:13]
	v_fma_f64 v[32:33], v[0:1], s[26:27], -v[190:191]
	v_fma_f64 v[34:35], v[2:3], s[34:35], v[188:189]
	v_fma_f64 v[0:1], v[0:1], s[12:13], -v[28:29]
	v_fma_f64 v[2:3], v[2:3], s[8:9], v[30:31]
	v_add_f64 v[12:13], v[32:33], v[12:13]
	s_delay_alu instid0(VALU_DEP_4) | instskip(SKIP_2) | instid1(VALU_DEP_2)
	v_add_f64 v[14:15], v[34:35], v[14:15]
	v_fma_f64 v[32:33], v[162:163], s[24:25], -v[148:149]
	v_fma_f64 v[34:35], v[166:167], s[18:19], v[150:151]
	v_add_f64 v[32:33], v[32:33], v[170:171]
	s_delay_alu instid0(VALU_DEP_2) | instskip(NEXT) | instid1(VALU_DEP_2)
	v_add_f64 v[34:35], v[34:35], v[174:175]
	v_add_f64 v[32:33], v[36:37], v[32:33]
	s_delay_alu instid0(VALU_DEP_2) | instskip(SKIP_2) | instid1(VALU_DEP_4)
	v_add_f64 v[34:35], v[38:39], v[34:35]
	v_fma_f64 v[36:37], v[172:173], s[16:17], -v[184:185]
	v_fma_f64 v[38:39], v[168:169], s[10:11], v[186:187]
	v_add_f64 v[4:5], v[4:5], v[32:33]
	s_delay_alu instid0(VALU_DEP_4) | instskip(NEXT) | instid1(VALU_DEP_2)
	v_add_f64 v[6:7], v[6:7], v[34:35]
	v_add_f64 v[4:5], v[36:37], v[4:5]
	s_delay_alu instid0(VALU_DEP_2) | instskip(NEXT) | instid1(VALU_DEP_2)
	v_add_f64 v[6:7], v[38:39], v[6:7]
	v_add_f64 v[148:149], v[0:1], v[4:5]
	s_delay_alu instid0(VALU_DEP_2)
	v_add_f64 v[150:151], v[2:3], v[6:7]
	ds_store_b128 v221, v[16:19] offset:32
	ds_store_b128 v221, v[24:27] offset:48
	;; [unrolled: 1-line block ×11, first 2 shown]
	ds_store_b128 v221, v[152:155]
	ds_store_b128 v221, v[148:151] offset:192
	s_waitcnt lgkmcnt(0)
	s_barrier
	buffer_gl0_inv
	ds_load_b128 v[152:155], v255
	ds_load_b128 v[156:159], v255 offset:624
	ds_load_b128 v[172:175], v255 offset:2704
	;; [unrolled: 1-line block ×11, first 2 shown]
	s_and_saveexec_b32 s0, vcc_lo
	s_cbranch_execz .LBB0_7
; %bb.6:
	ds_load_b128 v[148:151], v255 offset:2496
	ds_load_b128 v[104:107], v255 offset:5200
	;; [unrolled: 1-line block ×3, first 2 shown]
.LBB0_7:
	s_or_b32 exec_lo, exec_lo, s0
	s_waitcnt lgkmcnt(8)
	v_mul_f64 v[12:13], v[94:95], v[168:169]
	s_waitcnt lgkmcnt(6)
	v_mul_f64 v[14:15], v[90:91], v[176:177]
	;; [unrolled: 2-line block ×4, first 2 shown]
	v_mul_f64 v[0:1], v[86:87], v[174:175]
	v_mul_f64 v[4:5], v[86:87], v[172:173]
	;; [unrolled: 1-line block ×12, first 2 shown]
	s_mov_b32 s0, 0xe8584caa
	s_mov_b32 s1, 0xbfebb67a
	;; [unrolled: 1-line block ×4, first 2 shown]
	s_barrier
	buffer_gl0_inv
	v_fma_f64 v[12:13], v[92:93], v[170:171], -v[12:13]
	v_fma_f64 v[14:15], v[88:89], v[178:179], -v[14:15]
	v_fma_f64 v[24:25], v[80:81], v[184:185], v[24:25]
	v_fma_f64 v[26:27], v[76:77], v[192:193], v[26:27]
	;; [unrolled: 1-line block ×3, first 2 shown]
	v_fma_f64 v[4:5], v[84:85], v[174:175], -v[4:5]
	v_fma_f64 v[6:7], v[72:73], v[182:183], -v[6:7]
	v_fma_f64 v[8:9], v[92:93], v[168:169], v[8:9]
	v_fma_f64 v[16:17], v[100:101], v[188:189], v[16:17]
	v_fma_f64 v[28:29], v[80:81], v[186:187], -v[28:29]
	v_fma_f64 v[30:31], v[76:77], v[194:195], -v[30:31]
	v_fma_f64 v[2:3], v[72:73], v[180:181], v[2:3]
	v_fma_f64 v[10:11], v[88:89], v[176:177], v[10:11]
	;; [unrolled: 1-line block ×3, first 2 shown]
	v_fma_f64 v[20:21], v[100:101], v[190:191], -v[20:21]
	v_fma_f64 v[22:23], v[96:97], v[198:199], -v[22:23]
	v_add_f64 v[86:87], v[158:159], v[12:13]
	v_add_f64 v[38:39], v[12:13], v[14:15]
	v_add_f64 v[92:93], v[164:165], v[24:25]
	v_add_f64 v[76:77], v[24:25], v[26:27]
	v_add_f64 v[80:81], v[152:153], v[0:1]
	v_add_f64 v[98:99], v[12:13], -v[14:15]
	v_add_f64 v[34:35], v[4:5], v[6:7]
	v_add_f64 v[82:83], v[4:5], -v[6:7]
	v_add_f64 v[4:5], v[154:155], v[4:5]
	v_add_f64 v[84:85], v[156:157], v[8:9]
	;; [unrolled: 1-line block ×5, first 2 shown]
	v_add_f64 v[28:29], v[28:29], -v[30:31]
	v_add_f64 v[32:33], v[0:1], v[2:3]
	v_add_f64 v[36:37], v[8:9], v[10:11]
	v_add_f64 v[96:97], v[0:1], -v[2:3]
	v_add_f64 v[100:101], v[8:9], -v[10:11]
	v_add_f64 v[90:91], v[162:163], v[20:21]
	v_add_f64 v[72:73], v[16:17], v[18:19]
	;; [unrolled: 1-line block ×3, first 2 shown]
	v_add_f64 v[102:103], v[20:21], -v[22:23]
	v_fma_f64 v[38:39], v[38:39], -0.5, v[158:159]
	v_add_f64 v[12:13], v[92:93], v[26:27]
	v_fma_f64 v[158:159], v[76:77], -0.5, v[164:165]
	v_add_f64 v[0:1], v[80:81], v[2:3]
	v_fma_f64 v[34:35], v[34:35], -0.5, v[154:155]
	v_add_f64 v[154:155], v[16:17], -v[18:19]
	v_add_f64 v[2:3], v[4:5], v[6:7]
	v_add_f64 v[4:5], v[84:85], v[10:11]
	;; [unrolled: 1-line block ×5, first 2 shown]
	v_fma_f64 v[32:33], v[32:33], -0.5, v[152:153]
	v_fma_f64 v[36:37], v[36:37], -0.5, v[156:157]
	v_add_f64 v[10:11], v[90:91], v[22:23]
	v_fma_f64 v[152:153], v[72:73], -0.5, v[160:161]
	v_add_f64 v[160:161], v[24:25], -v[26:27]
	v_fma_f64 v[156:157], v[74:75], -0.5, v[162:163]
	v_fma_f64 v[162:163], v[78:79], -0.5, v[166:167]
	v_fma_f64 v[26:27], v[100:101], s[8:9], v[38:39]
	v_fma_f64 v[74:75], v[100:101], s[0:1], v[38:39]
	;; [unrolled: 1-line block ×4, first 2 shown]
	scratch_load_b32 v28, off, off offset:184 ; 4-byte Folded Reload
	v_fma_f64 v[18:19], v[96:97], s[8:9], v[34:35]
	v_fma_f64 v[22:23], v[96:97], s[0:1], v[34:35]
	;; [unrolled: 1-line block ×6, first 2 shown]
	s_waitcnt vmcnt(0)
	ds_store_b128 v28, v[0:3]
	ds_store_b128 v28, v[16:19] offset:208
	ds_store_b128 v28, v[20:23] offset:416
	scratch_load_b32 v0, off, off offset:180 ; 4-byte Folded Reload
	v_fma_f64 v[76:77], v[102:103], s[0:1], v[152:153]
	v_fma_f64 v[78:79], v[154:155], s[8:9], v[156:157]
	;; [unrolled: 1-line block ×6, first 2 shown]
	s_waitcnt vmcnt(0)
	ds_store_b128 v0, v[4:7]
	ds_store_b128 v0, v[24:27] offset:208
	ds_store_b128 v0, v[72:75] offset:416
	scratch_load_b32 v0, off, off offset:176 ; 4-byte Folded Reload
	s_waitcnt vmcnt(0)
	ds_store_b128 v0, v[8:11]
	ds_store_b128 v0, v[76:79] offset:208
	ds_store_b128 v0, v[80:83] offset:416
	scratch_load_b32 v0, off, off offset:172 ; 4-byte Folded Reload
	s_waitcnt vmcnt(0)
	ds_store_b128 v0, v[12:15]
	ds_store_b128 v0, v[84:87] offset:208
	ds_store_b128 v0, v[88:91] offset:416
	s_and_saveexec_b32 s10, vcc_lo
	s_cbranch_execz .LBB0_9
; %bb.8:
	v_mul_f64 v[0:1], v[58:59], v[104:105]
	v_mul_f64 v[2:3], v[54:55], v[108:109]
	;; [unrolled: 1-line block ×4, first 2 shown]
	s_delay_alu instid0(VALU_DEP_4) | instskip(NEXT) | instid1(VALU_DEP_4)
	v_fma_f64 v[0:1], v[56:57], v[106:107], -v[0:1]
	v_fma_f64 v[2:3], v[52:53], v[110:111], -v[2:3]
	s_delay_alu instid0(VALU_DEP_4) | instskip(NEXT) | instid1(VALU_DEP_4)
	v_fma_f64 v[4:5], v[56:57], v[104:105], v[4:5]
	v_fma_f64 v[6:7], v[52:53], v[108:109], v[6:7]
	s_delay_alu instid0(VALU_DEP_4) | instskip(NEXT) | instid1(VALU_DEP_4)
	v_add_f64 v[14:15], v[150:151], v[0:1]
	v_add_f64 v[8:9], v[0:1], v[2:3]
	v_add_f64 v[16:17], v[0:1], -v[2:3]
	s_delay_alu instid0(VALU_DEP_4)
	v_add_f64 v[10:11], v[4:5], v[6:7]
	v_add_f64 v[12:13], v[4:5], -v[6:7]
	v_add_f64 v[4:5], v[148:149], v[4:5]
	v_add_f64 v[2:3], v[14:15], v[2:3]
	v_fma_f64 v[8:9], v[8:9], -0.5, v[150:151]
	v_fma_f64 v[18:19], v[10:11], -0.5, v[148:149]
	s_delay_alu instid0(VALU_DEP_4) | instskip(NEXT) | instid1(VALU_DEP_3)
	v_add_f64 v[0:1], v[4:5], v[6:7]
	v_fma_f64 v[6:7], v[12:13], s[0:1], v[8:9]
	v_fma_f64 v[10:11], v[12:13], s[8:9], v[8:9]
	s_clause 0x1
	scratch_load_b32 v12, off, off
	scratch_load_b32 v13, off, off offset:168
	v_fma_f64 v[8:9], v[16:17], s[0:1], v[18:19]
	v_fma_f64 v[4:5], v[16:17], s[8:9], v[18:19]
	s_waitcnt vmcnt(0)
	v_lshl_add_u32 v12, v13, 4, v12
	ds_store_b128 v12, v[0:3] offset:7488
	ds_store_b128 v12, v[8:11] offset:7696
	ds_store_b128 v12, v[4:7] offset:7904
.LBB0_9:
	s_or_b32 exec_lo, exec_lo, s10
	s_waitcnt lgkmcnt(0)
	s_barrier
	buffer_gl0_inv
	ds_load_b128 v[0:3], v255 offset:624
	ds_load_b128 v[6:9], v255 offset:7488
	;; [unrolled: 1-line block ×4, first 2 shown]
	ds_load_b128 v[52:55], v255
	s_mov_b32 s10, 0x4267c47c
	s_mov_b32 s12, 0xe00740e9
	;; [unrolled: 1-line block ×15, first 2 shown]
	s_waitcnt lgkmcnt(4)
	v_mul_f64 v[4:5], v[70:71], v[2:3]
	v_mul_f64 v[26:27], v[70:71], v[0:1]
	ds_load_b128 v[18:21], v255 offset:1872
	ds_load_b128 v[22:25], v255 offset:6240
	;; [unrolled: 1-line block ×6, first 2 shown]
	s_waitcnt lgkmcnt(9)
	v_mul_f64 v[28:29], v[146:147], v[6:7]
	s_waitcnt lgkmcnt(8)
	v_mul_f64 v[30:31], v[62:63], v[10:11]
	;; [unrolled: 2-line block ×3, first 2 shown]
	v_mul_f64 v[34:35], v[62:63], v[12:13]
	v_mul_f64 v[62:63], v[146:147], v[8:9]
	;; [unrolled: 1-line block ×3, first 2 shown]
	ds_load_b128 v[86:89], v255 offset:3744
	ds_load_b128 v[90:93], v255 offset:4368
	s_mov_b32 s15, 0x3fe22d96
	s_mov_b32 s19, 0xbfefc445
	;; [unrolled: 1-line block ×7, first 2 shown]
	s_waitcnt lgkmcnt(7)
	v_mul_f64 v[36:37], v[66:67], v[18:19]
	s_waitcnt lgkmcnt(6)
	v_mul_f64 v[38:39], v[138:139], v[22:23]
	v_mul_f64 v[58:59], v[66:67], v[20:21]
	s_waitcnt lgkmcnt(5)
	v_mul_f64 v[66:67], v[130:131], v[72:73]
	;; [unrolled: 3-line block ×3, first 2 shown]
	v_mul_f64 v[110:111], v[122:123], v[78:79]
	v_mul_f64 v[96:97], v[130:131], v[70:71]
	;; [unrolled: 1-line block ×4, first 2 shown]
	s_mov_b32 s41, 0xbfcea1e5
	s_mov_b32 s43, 0xbfef11f4
	s_waitcnt lgkmcnt(0)
	v_mul_f64 v[106:107], v[126:127], v[90:91]
	s_mov_b32 s1, 0x3fddbe06
	s_mov_b32 s17, 0x3fea55e2
	;; [unrolled: 1-line block ×8, first 2 shown]
	v_fma_f64 v[104:105], v[68:69], v[0:1], v[4:5]
	v_fma_f64 v[26:27], v[68:69], v[2:3], -v[26:27]
	v_mul_f64 v[68:69], v[126:127], v[92:93]
	v_fma_f64 v[0:1], v[144:145], v[8:9], -v[28:29]
	v_fma_f64 v[28:29], v[60:61], v[12:13], -v[30:31]
	;; [unrolled: 1-line block ×3, first 2 shown]
	v_mul_f64 v[12:13], v[118:119], v[76:77]
	v_fma_f64 v[2:3], v[144:145], v[6:7], v[62:63]
	v_fma_f64 v[6:7], v[140:141], v[14:15], v[94:95]
	v_mul_f64 v[30:31], v[114:115], v[88:89]
	v_mul_f64 v[16:17], v[118:119], v[74:75]
	;; [unrolled: 1-line block ×3, first 2 shown]
	s_mov_b32 s30, s26
	s_mov_b32 s38, s24
	;; [unrolled: 1-line block ×3, first 2 shown]
	v_fma_f64 v[20:21], v[64:65], v[20:21], -v[36:37]
	v_fma_f64 v[56:57], v[136:137], v[24:25], -v[38:39]
	v_fma_f64 v[24:25], v[60:61], v[10:11], v[34:35]
	v_fma_f64 v[18:19], v[64:65], v[18:19], v[58:59]
	;; [unrolled: 1-line block ×5, first 2 shown]
	v_fma_f64 v[22:23], v[128:129], v[72:73], -v[96:97]
	v_fma_f64 v[8:9], v[132:133], v[84:85], -v[102:103]
	v_fma_f64 v[14:15], v[120:121], v[78:79], v[108:109]
	v_fma_f64 v[70:71], v[124:125], v[92:93], -v[106:107]
	v_add_f64 v[36:37], v[52:53], v[104:105]
	v_add_f64 v[38:39], v[54:55], v[26:27]
	v_fma_f64 v[68:69], v[124:125], v[90:91], v[68:69]
	v_add_f64 v[60:61], v[26:27], -v[0:1]
	v_add_f64 v[26:27], v[26:27], v[0:1]
	v_add_f64 v[62:63], v[28:29], -v[4:5]
	v_add_f64 v[64:65], v[28:29], v[4:5]
	v_fma_f64 v[66:67], v[116:117], v[74:75], v[12:13]
	v_fma_f64 v[12:13], v[120:121], v[80:81], -v[110:111]
	v_fma_f64 v[30:31], v[112:113], v[86:87], v[30:31]
	v_fma_f64 v[16:17], v[116:117], v[76:77], -v[16:17]
	v_add_f64 v[76:77], v[104:105], v[2:3]
	v_add_f64 v[78:79], v[104:105], -v[2:3]
	v_fma_f64 v[32:33], v[112:113], v[88:89], -v[32:33]
	v_add_f64 v[72:73], v[20:21], -v[56:57]
	v_add_f64 v[80:81], v[24:25], v[6:7]
	v_add_f64 v[82:83], v[24:25], -v[6:7]
	v_add_f64 v[74:75], v[20:21], v[56:57]
	v_add_f64 v[84:85], v[18:19], v[58:59]
	v_add_f64 v[86:87], v[18:19], -v[58:59]
	v_add_f64 v[88:89], v[34:35], v[10:11]
	v_add_f64 v[90:91], v[22:23], v[8:9]
	v_add_f64 v[94:95], v[22:23], -v[8:9]
	v_add_f64 v[92:93], v[34:35], -v[10:11]
	v_add_f64 v[24:25], v[36:37], v[24:25]
	v_add_f64 v[28:29], v[38:39], v[28:29]
	v_mul_f64 v[36:37], v[60:61], s[10:11]
	v_mul_f64 v[38:39], v[26:27], s[12:13]
	;; [unrolled: 1-line block ×35, first 2 shown]
	v_add_f64 v[18:19], v[24:25], v[18:19]
	v_add_f64 v[20:21], v[28:29], v[20:21]
	v_mul_f64 v[74:75], v[74:75], s[36:37]
	v_fma_f64 v[24:25], v[76:77], s[12:13], v[36:37]
	v_fma_f64 v[28:29], v[78:79], s[0:1], v[38:39]
	v_fma_f64 v[36:37], v[76:77], s[12:13], -v[36:37]
	v_fma_f64 v[38:39], v[78:79], s[10:11], v[38:39]
	v_fma_f64 v[172:173], v[76:77], s[14:15], v[96:97]
	;; [unrolled: 1-line block ×3, first 2 shown]
	v_fma_f64 v[96:97], v[76:77], s[14:15], -v[96:97]
	v_fma_f64 v[98:99], v[78:79], s[8:9], v[98:99]
	v_fma_f64 v[176:177], v[76:77], s[20:21], v[100:101]
	;; [unrolled: 1-line block ×4, first 2 shown]
	v_fma_f64 v[104:105], v[76:77], s[28:29], -v[104:105]
	v_fma_f64 v[106:107], v[78:79], s[26:27], v[106:107]
	v_fma_f64 v[186:187], v[78:79], s[38:39], v[110:111]
	;; [unrolled: 1-line block ×5, first 2 shown]
	v_mul_f64 v[152:153], v[94:95], s[26:27]
	v_mul_f64 v[154:155], v[90:91], s[28:29]
	v_fma_f64 v[178:179], v[78:79], s[22:23], v[102:103]
	v_fma_f64 v[100:101], v[76:77], s[20:21], -v[100:101]
	v_fma_f64 v[102:103], v[78:79], s[18:19], v[102:103]
	v_fma_f64 v[184:185], v[76:77], s[36:37], v[108:109]
	v_fma_f64 v[108:109], v[76:77], s[36:37], -v[108:109]
	v_fma_f64 v[110:111], v[78:79], s[24:25], v[110:111]
	v_fma_f64 v[60:61], v[76:77], s[42:43], -v[60:61]
	v_fma_f64 v[76:77], v[80:81], s[14:15], v[112:113]
	v_fma_f64 v[78:79], v[82:83], s[16:17], v[114:115]
	v_fma_f64 v[112:113], v[80:81], s[14:15], -v[112:113]
	v_fma_f64 v[114:115], v[82:83], s[8:9], v[114:115]
	v_fma_f64 v[192:193], v[80:81], s[28:29], v[116:117]
	;; [unrolled: 1-line block ×3, first 2 shown]
	v_fma_f64 v[116:117], v[80:81], s[28:29], -v[116:117]
	v_fma_f64 v[118:119], v[82:83], s[26:27], v[118:119]
	v_fma_f64 v[196:197], v[80:81], s[42:43], v[120:121]
	v_add_f64 v[18:19], v[18:19], v[34:35]
	v_add_f64 v[20:21], v[20:21], v[22:23]
	v_fma_f64 v[201:202], v[80:81], s[36:37], v[124:125]
	v_fma_f64 v[203:204], v[82:83], s[24:25], v[126:127]
	v_fma_f64 v[124:125], v[80:81], s[36:37], -v[124:125]
	v_fma_f64 v[22:23], v[82:83], s[38:39], v[126:127]
	v_fma_f64 v[126:127], v[82:83], s[18:19], v[130:131]
	v_add_f64 v[24:25], v[52:53], v[24:25]
	v_fma_f64 v[205:206], v[80:81], s[12:13], v[62:63]
	v_add_f64 v[28:29], v[54:55], v[28:29]
	v_fma_f64 v[207:208], v[82:83], s[10:11], v[64:65]
	v_fma_f64 v[64:65], v[82:83], s[0:1], v[64:65]
	v_add_f64 v[36:37], v[52:53], v[36:37]
	v_add_f64 v[38:39], v[54:55], v[38:39]
	;; [unrolled: 1-line block ×12, first 2 shown]
	v_mul_f64 v[156:157], v[94:95], s[38:39]
	v_mul_f64 v[158:159], v[90:91], s[36:37]
	;; [unrolled: 1-line block ×10, first 2 shown]
	v_fma_f64 v[198:199], v[82:83], s[34:35], v[122:123]
	v_fma_f64 v[120:121], v[80:81], s[42:43], -v[120:121]
	v_fma_f64 v[122:123], v[82:83], s[40:41], v[122:123]
	v_fma_f64 v[34:35], v[80:81], s[20:21], v[128:129]
	v_add_f64 v[18:19], v[18:19], v[66:67]
	v_add_f64 v[20:21], v[20:21], v[16:17]
	v_fma_f64 v[128:129], v[80:81], s[20:21], -v[128:129]
	v_fma_f64 v[130:131], v[82:83], s[22:23], v[130:131]
	v_fma_f64 v[62:63], v[80:81], s[12:13], -v[62:63]
	v_fma_f64 v[80:81], v[84:85], s[20:21], v[132:133]
	v_fma_f64 v[82:83], v[86:87], s[22:23], v[134:135]
	v_fma_f64 v[132:133], v[84:85], s[20:21], -v[132:133]
	v_fma_f64 v[134:135], v[86:87], s[18:19], v[134:135]
	v_add_f64 v[178:179], v[54:55], v[178:179]
	v_add_f64 v[100:101], v[52:53], v[100:101]
	;; [unrolled: 1-line block ×10, first 2 shown]
	v_fma_f64 v[54:55], v[84:85], s[42:43], v[136:137]
	v_fma_f64 v[60:61], v[86:87], s[34:35], v[138:139]
	v_fma_f64 v[136:137], v[84:85], s[42:43], -v[136:137]
	v_fma_f64 v[138:139], v[86:87], s[40:41], v[138:139]
	v_add_f64 v[24:25], v[76:77], v[24:25]
	v_fma_f64 v[76:77], v[84:85], s[28:29], v[140:141]
	v_add_f64 v[28:29], v[78:79], v[28:29]
	v_fma_f64 v[78:79], v[86:87], s[26:27], v[142:143]
	v_fma_f64 v[140:141], v[84:85], s[28:29], -v[140:141]
	v_fma_f64 v[142:143], v[86:87], s[30:31], v[142:143]
	v_add_f64 v[36:37], v[112:113], v[36:37]
	v_fma_f64 v[112:113], v[84:85], s[12:13], v[144:145]
	v_add_f64 v[38:39], v[114:115], v[38:39]
	;; [unrolled: 6-line block ×3, first 2 shown]
	v_add_f64 v[18:19], v[18:19], v[30:31]
	v_add_f64 v[20:21], v[20:21], v[32:33]
	v_fma_f64 v[194:195], v[86:87], s[16:17], v[150:151]
	v_fma_f64 v[148:149], v[84:85], s[14:15], -v[148:149]
	v_fma_f64 v[150:151], v[86:87], s[8:9], v[150:151]
	v_add_f64 v[96:97], v[116:117], v[96:97]
	v_fma_f64 v[116:117], v[84:85], s[36:37], v[72:73]
	v_add_f64 v[98:99], v[118:119], v[98:99]
	v_add_f64 v[118:119], v[196:197], v[176:177]
	;; [unrolled: 1-line block ×5, first 2 shown]
	v_fma_f64 v[124:125], v[86:87], s[38:39], v[74:75]
	v_fma_f64 v[72:73], v[84:85], s[36:37], -v[72:73]
	v_fma_f64 v[74:75], v[86:87], s[24:25], v[74:75]
	v_fma_f64 v[84:85], v[88:89], s[28:29], v[152:153]
	;; [unrolled: 1-line block ×3, first 2 shown]
	v_fma_f64 v[126:127], v[88:89], s[28:29], -v[152:153]
	v_fma_f64 v[152:153], v[92:93], s[26:27], v[154:155]
	v_add_f64 v[154:155], v[16:17], -v[12:13]
	v_add_f64 v[16:17], v[16:17], v[12:13]
	v_add_f64 v[188:189], v[205:206], v[188:189]
	;; [unrolled: 1-line block ×9, first 2 shown]
	v_fma_f64 v[178:179], v[88:89], s[36:37], v[156:157]
	v_fma_f64 v[180:181], v[92:93], s[24:25], v[158:159]
	v_fma_f64 v[156:157], v[88:89], s[36:37], -v[156:157]
	v_fma_f64 v[158:159], v[92:93], s[38:39], v[158:159]
	v_fma_f64 v[182:183], v[88:89], s[12:13], v[160:161]
	;; [unrolled: 1-line block ×3, first 2 shown]
	v_fma_f64 v[160:161], v[88:89], s[12:13], -v[160:161]
	v_fma_f64 v[162:163], v[92:93], s[0:1], v[162:163]
	v_fma_f64 v[186:187], v[88:89], s[20:21], v[164:165]
	v_add_f64 v[18:19], v[18:19], v[68:69]
	v_add_f64 v[20:21], v[20:21], v[70:71]
	v_fma_f64 v[196:197], v[92:93], s[22:23], v[166:167]
	v_fma_f64 v[164:165], v[88:89], s[20:21], -v[164:165]
	v_fma_f64 v[166:167], v[92:93], s[18:19], v[166:167]
	v_fma_f64 v[198:199], v[88:89], s[42:43], v[168:169]
	;; [unrolled: 1-line block ×3, first 2 shown]
	v_fma_f64 v[168:169], v[88:89], s[42:43], -v[168:169]
	v_fma_f64 v[170:171], v[92:93], s[34:35], v[170:171]
	v_fma_f64 v[203:204], v[88:89], s[14:15], v[94:95]
	v_fma_f64 v[88:89], v[88:89], s[14:15], -v[94:95]
	v_fma_f64 v[94:95], v[92:93], s[8:9], v[90:91]
	v_fma_f64 v[90:91], v[92:93], s[16:17], v[90:91]
	v_add_f64 v[92:93], v[32:33], -v[70:71]
	v_add_f64 v[32:33], v[32:33], v[70:71]
	v_add_f64 v[108:109], v[128:129], v[108:109]
	;; [unrolled: 1-line block ×3, first 2 shown]
	v_add_f64 v[66:67], v[66:67], -v[14:15]
	v_add_f64 v[110:111], v[130:131], v[110:111]
	v_add_f64 v[130:131], v[30:31], v[68:69]
	v_add_f64 v[30:31], v[30:31], -v[68:69]
	v_mul_f64 v[68:69], v[154:155], s[24:25]
	v_mul_f64 v[70:71], v[16:17], s[36:37]
	;; [unrolled: 1-line block ×3, first 2 shown]
	v_add_f64 v[190:191], v[207:208], v[190:191]
	v_mul_f64 v[207:208], v[16:17], s[20:21]
	v_add_f64 v[52:53], v[62:63], v[52:53]
	v_mul_f64 v[62:63], v[154:155], s[8:9]
	v_mul_f64 v[64:65], v[16:17], s[14:15]
	v_add_f64 v[24:25], v[80:81], v[24:25]
	v_mul_f64 v[80:81], v[154:155], s[34:35]
	v_add_f64 v[36:37], v[132:133], v[36:37]
	;; [unrolled: 2-line block ×4, first 2 shown]
	v_mul_f64 v[172:173], v[16:17], s[12:13]
	v_mul_f64 v[154:155], v[154:155], s[26:27]
	;; [unrolled: 1-line block ×3, first 2 shown]
	v_add_f64 v[76:77], v[76:77], v[118:119]
	v_add_f64 v[14:15], v[18:19], v[14:15]
	;; [unrolled: 1-line block ×12, first 2 shown]
	v_mul_f64 v[174:175], v[92:93], s[40:41]
	v_mul_f64 v[136:137], v[32:33], s[42:43]
	;; [unrolled: 1-line block ×12, first 2 shown]
	v_add_f64 v[114:115], v[114:115], v[122:123]
	v_fma_f64 v[122:123], v[128:129], s[36:37], v[68:69]
	v_fma_f64 v[68:69], v[128:129], s[36:37], -v[68:69]
	v_add_f64 v[106:107], v[194:195], v[106:107]
	v_fma_f64 v[194:195], v[128:129], s[14:15], v[62:63]
	v_add_f64 v[108:109], v[148:149], v[108:109]
	v_add_f64 v[124:125], v[124:125], v[190:191]
	;; [unrolled: 1-line block ×4, first 2 shown]
	v_fma_f64 v[62:63], v[128:129], s[14:15], -v[62:63]
	v_fma_f64 v[190:191], v[128:129], s[12:13], v[134:135]
	v_fma_f64 v[134:135], v[128:129], s[12:13], -v[134:135]
	v_fma_f64 v[74:75], v[128:129], s[28:29], v[154:155]
	v_add_f64 v[38:39], v[152:153], v[38:39]
	v_add_f64 v[76:77], v[182:183], v[76:77]
	;; [unrolled: 1-line block ×3, first 2 shown]
	v_fma_f64 v[14:15], v[66:67], s[30:31], v[16:17]
	v_add_f64 v[8:9], v[12:13], v[8:9]
	v_fma_f64 v[12:13], v[66:67], s[26:27], v[16:17]
	v_add_f64 v[16:17], v[82:83], v[28:29]
	v_add_f64 v[116:117], v[203:204], v[116:117]
	;; [unrolled: 1-line block ×7, first 2 shown]
	v_fma_f64 v[28:29], v[130:131], s[42:43], v[174:175]
	v_add_f64 v[104:105], v[144:145], v[104:105]
	v_add_f64 v[22:23], v[146:147], v[22:23]
	v_fma_f64 v[144:145], v[66:67], s[38:39], v[70:71]
	v_fma_f64 v[84:85], v[130:131], s[36:37], v[176:177]
	;; [unrolled: 1-line block ×6, first 2 shown]
	v_add_f64 v[54:55], v[178:179], v[54:55]
	v_add_f64 v[60:61], v[180:181], v[60:61]
	v_fma_f64 v[152:153], v[30:31], s[18:19], v[32:33]
	v_fma_f64 v[32:33], v[30:31], s[22:23], v[32:33]
	;; [unrolled: 1-line block ×3, first 2 shown]
	v_add_f64 v[78:79], v[184:185], v[78:79]
	v_fma_f64 v[64:65], v[66:67], s[8:9], v[64:65]
	v_fma_f64 v[150:151], v[128:129], s[42:43], v[80:81]
	v_add_f64 v[108:109], v[168:169], v[108:109]
	v_add_f64 v[94:95], v[94:95], v[124:125]
	v_fma_f64 v[124:125], v[30:31], s[26:27], v[20:21]
	v_fma_f64 v[188:189], v[66:67], s[40:41], v[132:133]
	v_add_f64 v[102:103], v[162:163], v[102:103]
	v_add_f64 v[112:113], v[186:187], v[112:113]
	;; [unrolled: 1-line block ×3, first 2 shown]
	v_fma_f64 v[205:206], v[128:129], s[20:21], -v[205:206]
	v_fma_f64 v[72:73], v[66:67], s[10:11], v[172:173]
	v_add_f64 v[96:97], v[156:157], v[96:97]
	v_add_f64 v[10:11], v[10:11], v[58:59]
	v_fma_f64 v[58:59], v[130:131], s[14:15], v[142:143]
	v_add_f64 v[8:9], v[8:9], v[56:57]
	v_fma_f64 v[56:57], v[130:131], s[14:15], -v[142:143]
	v_add_f64 v[16:17], v[86:87], v[16:17]
	v_fma_f64 v[86:87], v[30:31], s[16:17], v[120:121]
	v_fma_f64 v[120:121], v[30:31], s[30:31], v[20:21]
	;; [unrolled: 1-line block ×3, first 2 shown]
	v_add_f64 v[20:21], v[122:123], v[24:25]
	v_add_f64 v[24:25], v[68:69], v[36:37]
	;; [unrolled: 1-line block ×8, first 2 shown]
	v_fma_f64 v[80:81], v[128:129], s[42:43], -v[80:81]
	v_fma_f64 v[128:129], v[128:129], s[28:29], -v[154:155]
	v_add_f64 v[52:53], v[88:89], v[52:53]
	v_fma_f64 v[172:173], v[66:67], s[0:1], v[172:173]
	v_add_f64 v[88:89], v[170:171], v[110:111]
	v_fma_f64 v[207:208], v[66:67], s[22:23], v[207:208]
	v_fma_f64 v[132:133], v[66:67], s[34:35], v[132:133]
	v_add_f64 v[98:99], v[158:159], v[98:99]
	v_add_f64 v[104:105], v[164:165], v[104:105]
	;; [unrolled: 1-line block ×3, first 2 shown]
	v_fma_f64 v[66:67], v[130:131], s[42:43], -v[174:175]
	v_fma_f64 v[154:155], v[130:131], s[12:13], v[138:139]
	v_add_f64 v[100:101], v[134:135], v[108:109]
	v_fma_f64 v[174:175], v[30:31], s[10:11], v[118:119]
	v_add_f64 v[36:37], v[70:71], v[38:39]
	v_add_f64 v[38:39], v[146:147], v[54:55]
	;; [unrolled: 1-line block ×3, first 2 shown]
	v_fma_f64 v[126:127], v[30:31], s[38:39], v[140:141]
	v_add_f64 v[70:71], v[148:149], v[78:79]
	v_add_f64 v[76:77], v[64:65], v[102:103]
	v_add_f64 v[64:65], v[150:151], v[112:113]
	v_add_f64 v[78:79], v[188:189], v[114:115]
	v_fma_f64 v[138:139], v[130:131], s[12:13], -v[138:139]
	v_fma_f64 v[176:177], v[130:131], s[36:37], -v[176:177]
	v_add_f64 v[108:109], v[8:9], v[4:5]
	v_fma_f64 v[110:111], v[130:131], s[28:29], v[18:19]
	v_add_f64 v[60:61], v[205:206], v[96:97]
	v_add_f64 v[94:95], v[14:15], v[94:95]
	v_fma_f64 v[92:93], v[130:131], s[20:21], -v[92:93]
	v_fma_f64 v[18:19], v[130:131], s[28:29], -v[18:19]
	v_add_f64 v[4:5], v[28:29], v[20:21]
	v_fma_f64 v[82:83], v[30:31], s[40:41], v[136:137]
	v_add_f64 v[20:21], v[84:85], v[68:69]
	v_add_f64 v[68:69], v[142:143], v[74:75]
	;; [unrolled: 1-line block ×3, first 2 shown]
	scratch_load_b32 v33, off, off offset:52 ; 4-byte Folded Reload
	v_add_f64 v[34:35], v[190:191], v[34:35]
	v_add_f64 v[72:73], v[72:73], v[106:107]
	v_fma_f64 v[106:107], v[30:31], s[0:1], v[118:119]
	v_add_f64 v[6:7], v[10:11], v[6:7]
	v_add_f64 v[102:103], v[128:129], v[52:53]
	;; [unrolled: 1-line block ×4, first 2 shown]
	v_mad_u64_u32 v[28:29], null, s6, v200, 0
	v_add_f64 v[96:97], v[207:208], v[98:99]
	v_add_f64 v[80:81], v[80:81], v[104:105]
	;; [unrolled: 1-line block ×3, first 2 shown]
	v_fma_f64 v[104:105], v[30:31], s[24:25], v[140:141]
	v_fma_f64 v[30:31], v[30:31], s[34:35], v[136:137]
	v_add_f64 v[8:9], v[66:67], v[24:25]
	s_mul_i32 s1, s5, 0x270
	s_mul_i32 s0, s4, 0x270
	v_add_f64 v[12:13], v[154:155], v[38:39]
	v_add_f64 v[14:15], v[174:175], v[54:55]
	;; [unrolled: 1-line block ×21, first 2 shown]
	ds_store_b128 v255, v[12:15] offset:1248
	ds_store_b128 v255, v[20:23] offset:1872
	;; [unrolled: 1-line block ×11, first 2 shown]
	ds_store_b128 v255, v[76:79]
	ds_store_b128 v255, v[4:7] offset:624
	s_waitcnt vmcnt(0) lgkmcnt(0)
	s_barrier
	buffer_gl0_inv
	ds_load_b128 v[8:11], v255 offset:1248
	ds_load_b128 v[4:7], v255 offset:624
	v_mad_u64_u32 v[30:31], null, s4, v33, 0
	s_delay_alu instid0(VALU_DEP_1) | instskip(NEXT) | instid1(VALU_DEP_1)
	v_dual_mov_b32 v0, v29 :: v_dual_mov_b32 v1, v31
	v_mad_u64_u32 v[2:3], null, s7, v200, v[0:1]
	s_delay_alu instid0(VALU_DEP_1)
	v_mad_u64_u32 v[31:32], null, s5, v33, v[1:2]
	v_mov_b32_e32 v29, v2
	ds_load_b128 v[0:3], v255
	ds_load_b128 v[12:15], v255 offset:1872
	ds_load_b128 v[16:19], v255 offset:2496
	;; [unrolled: 1-line block ×10, first 2 shown]
	s_clause 0x1
	scratch_load_b128 v[120:123], off, off offset:20
	scratch_load_b128 v[116:119], off, off offset:4
	v_lshlrev_b64 v[28:29], 4, v[28:29]
	v_lshlrev_b64 v[30:31], 4, v[30:31]
	s_mul_hi_u32 s5, s4, 0x270
	s_delay_alu instid0(SALU_CYCLE_1) | instskip(NEXT) | instid1(VALU_DEP_2)
	s_add_i32 s1, s5, s1
	v_add_co_u32 v94, vcc_lo, s2, v28
	s_delay_alu instid0(VALU_DEP_3) | instskip(SKIP_1) | instid1(VALU_DEP_2)
	v_add_co_ci_u32_e32 v95, vcc_lo, s3, v29, vcc_lo
	s_mov_b32 s2, 0xfc7729e9
	v_add_co_u32 v94, vcc_lo, v94, v30
	s_delay_alu instid0(VALU_DEP_2)
	v_add_co_ci_u32_e32 v95, vcc_lo, v95, v31, vcc_lo
	s_waitcnt lgkmcnt(2)
	v_mul_f64 v[106:107], v[42:43], v[66:67]
	v_mul_f64 v[42:43], v[42:43], v[64:65]
	s_waitcnt lgkmcnt(1)
	v_mul_f64 v[108:109], v[46:47], v[70:71]
	v_mul_f64 v[46:47], v[46:47], v[68:69]
	;; [unrolled: 3-line block ×3, first 2 shown]
	v_add_co_u32 v112, vcc_lo, v94, s0
	v_add_co_ci_u32_e32 v113, vcc_lo, s1, v95, vcc_lo
	s_mov_b32 s3, 0x3f602864
	s_delay_alu instid0(VALU_DEP_2) | instskip(NEXT) | instid1(VALU_DEP_2)
	v_add_co_u32 v114, vcc_lo, v112, s0
	v_add_co_ci_u32_e32 v115, vcc_lo, s1, v113, vcc_lo
	v_fma_f64 v[42:43], v[40:41], v[66:67], -v[42:43]
	v_fma_f64 v[46:47], v[44:45], v[70:71], -v[46:47]
	v_fma_f64 v[50:51], v[48:49], v[74:75], -v[50:51]
	s_delay_alu instid0(VALU_DEP_3) | instskip(NEXT) | instid1(VALU_DEP_3)
	v_mul_f64 v[42:43], v[42:43], s[2:3]
	v_mul_f64 v[46:47], v[46:47], s[2:3]
	s_delay_alu instid0(VALU_DEP_3)
	v_mul_f64 v[50:51], v[50:51], s[2:3]
	s_waitcnt vmcnt(1)
	v_mul_f64 v[28:29], v[122:123], v[2:3]
	v_mul_f64 v[32:33], v[122:123], v[0:1]
	scratch_load_b128 v[122:125], off, off offset:36 ; 16-byte Folded Reload
	s_waitcnt vmcnt(1)
	v_mul_f64 v[34:35], v[118:119], v[6:7]
	v_mul_f64 v[36:37], v[118:119], v[4:5]
	v_fma_f64 v[0:1], v[120:121], v[0:1], v[28:29]
	v_fma_f64 v[2:3], v[120:121], v[2:3], -v[32:33]
	s_delay_alu instid0(VALU_DEP_4) | instskip(NEXT) | instid1(VALU_DEP_4)
	v_fma_f64 v[4:5], v[116:117], v[4:5], v[34:35]
	v_fma_f64 v[6:7], v[116:117], v[6:7], -v[36:37]
	s_delay_alu instid0(VALU_DEP_4) | instskip(NEXT) | instid1(VALU_DEP_4)
	v_mul_f64 v[0:1], v[0:1], s[2:3]
	v_mul_f64 v[2:3], v[2:3], s[2:3]
	s_delay_alu instid0(VALU_DEP_4) | instskip(NEXT) | instid1(VALU_DEP_4)
	v_mul_f64 v[4:5], v[4:5], s[2:3]
	v_mul_f64 v[6:7], v[6:7], s[2:3]
	s_waitcnt vmcnt(0)
	v_mul_f64 v[38:39], v[124:125], v[10:11]
	v_mul_f64 v[76:77], v[124:125], v[8:9]
	scratch_load_b128 v[124:127], off, off offset:56 ; 16-byte Folded Reload
	v_fma_f64 v[8:9], v[122:123], v[8:9], v[38:39]
	v_fma_f64 v[10:11], v[122:123], v[10:11], -v[76:77]
	v_add_co_u32 v76, vcc_lo, v114, s0
	v_add_co_ci_u32_e32 v77, vcc_lo, s1, v115, vcc_lo
	s_delay_alu instid0(VALU_DEP_4) | instskip(NEXT) | instid1(VALU_DEP_4)
	v_mul_f64 v[8:9], v[8:9], s[2:3]
	v_mul_f64 v[10:11], v[10:11], s[2:3]
	s_waitcnt vmcnt(0)
	v_mul_f64 v[78:79], v[126:127], v[14:15]
	v_mul_f64 v[80:81], v[126:127], v[12:13]
	scratch_load_b128 v[126:129], off, off offset:72 ; 16-byte Folded Reload
	v_fma_f64 v[12:13], v[124:125], v[12:13], v[78:79]
	v_fma_f64 v[14:15], v[124:125], v[14:15], -v[80:81]
	s_delay_alu instid0(VALU_DEP_2) | instskip(NEXT) | instid1(VALU_DEP_2)
	v_mul_f64 v[12:13], v[12:13], s[2:3]
	v_mul_f64 v[14:15], v[14:15], s[2:3]
	s_waitcnt vmcnt(0)
	v_mul_f64 v[82:83], v[128:129], v[18:19]
	v_mul_f64 v[84:85], v[128:129], v[16:17]
	scratch_load_b128 v[128:131], off, off offset:88 ; 16-byte Folded Reload
	v_fma_f64 v[16:17], v[126:127], v[16:17], v[82:83]
	v_fma_f64 v[18:19], v[126:127], v[18:19], -v[84:85]
	s_delay_alu instid0(VALU_DEP_2) | instskip(NEXT) | instid1(VALU_DEP_2)
	;; [unrolled: 9-line block ×4, first 2 shown]
	v_mul_f64 v[24:25], v[24:25], s[2:3]
	v_mul_f64 v[26:27], v[26:27], s[2:3]
	s_waitcnt vmcnt(0)
	v_mul_f64 v[30:31], v[134:135], v[54:55]
	v_mul_f64 v[96:97], v[134:135], v[52:53]
	scratch_load_b128 v[134:137], off, off offset:136 ; 16-byte Folded Reload
	v_fma_f64 v[28:29], v[132:133], v[52:53], v[30:31]
	v_fma_f64 v[30:31], v[132:133], v[54:55], -v[96:97]
	v_fma_f64 v[52:53], v[40:41], v[64:65], v[106:107]
	v_fma_f64 v[54:55], v[44:45], v[68:69], v[108:109]
	s_delay_alu instid0(VALU_DEP_4) | instskip(NEXT) | instid1(VALU_DEP_4)
	v_mul_f64 v[28:29], v[28:29], s[2:3]
	v_mul_f64 v[30:31], v[30:31], s[2:3]
	s_delay_alu instid0(VALU_DEP_4) | instskip(NEXT) | instid1(VALU_DEP_4)
	v_mul_f64 v[40:41], v[52:53], s[2:3]
	v_mul_f64 v[44:45], v[54:55], s[2:3]
	s_waitcnt vmcnt(0)
	v_mul_f64 v[98:99], v[136:137], v[58:59]
	v_mul_f64 v[100:101], v[136:137], v[56:57]
	scratch_load_b128 v[136:139], off, off offset:152 ; 16-byte Folded Reload
	v_fma_f64 v[32:33], v[134:135], v[56:57], v[98:99]
	v_fma_f64 v[34:35], v[134:135], v[58:59], -v[100:101]
	v_fma_f64 v[56:57], v[48:49], v[72:73], v[110:111]
	v_add_co_u32 v58, vcc_lo, v76, s0
	v_add_co_ci_u32_e32 v59, vcc_lo, s1, v77, vcc_lo
	v_mul_f64 v[32:33], v[32:33], s[2:3]
	v_mul_f64 v[34:35], v[34:35], s[2:3]
	;; [unrolled: 1-line block ×3, first 2 shown]
	s_waitcnt vmcnt(0)
	v_mul_f64 v[102:103], v[138:139], v[62:63]
	v_mul_f64 v[104:105], v[138:139], v[60:61]
	s_delay_alu instid0(VALU_DEP_2) | instskip(NEXT) | instid1(VALU_DEP_2)
	v_fma_f64 v[36:37], v[136:137], v[60:61], v[102:103]
	v_fma_f64 v[38:39], v[136:137], v[62:63], -v[104:105]
	v_add_co_u32 v60, vcc_lo, v58, s0
	v_add_co_ci_u32_e32 v61, vcc_lo, s1, v59, vcc_lo
	s_clause 0x4
	global_store_b128 v[94:95], v[0:3], off
	global_store_b128 v[112:113], v[4:7], off
	;; [unrolled: 1-line block ×6, first 2 shown]
	v_add_co_u32 v62, vcc_lo, v60, s0
	v_add_co_ci_u32_e32 v63, vcc_lo, s1, v61, vcc_lo
	s_delay_alu instid0(VALU_DEP_2) | instskip(NEXT) | instid1(VALU_DEP_2)
	v_add_co_u32 v52, vcc_lo, v62, s0
	v_add_co_ci_u32_e32 v53, vcc_lo, s1, v63, vcc_lo
	global_store_b128 v[62:63], v[24:27], off
	v_add_co_u32 v54, vcc_lo, v52, s0
	v_add_co_ci_u32_e32 v55, vcc_lo, s1, v53, vcc_lo
	global_store_b128 v[52:53], v[28:31], off
	v_add_co_u32 v56, vcc_lo, v54, s0
	v_add_co_ci_u32_e32 v57, vcc_lo, s1, v55, vcc_lo
	s_delay_alu instid0(VALU_DEP_2) | instskip(NEXT) | instid1(VALU_DEP_2)
	v_add_co_u32 v0, vcc_lo, v56, s0
	v_add_co_ci_u32_e32 v1, vcc_lo, s1, v57, vcc_lo
	s_delay_alu instid0(VALU_DEP_2) | instskip(NEXT) | instid1(VALU_DEP_2)
	v_add_co_u32 v2, vcc_lo, v0, s0
	v_add_co_ci_u32_e32 v3, vcc_lo, s1, v1, vcc_lo
	s_delay_alu instid0(VALU_DEP_2) | instskip(SKIP_2) | instid1(VALU_DEP_4)
	v_add_co_u32 v4, vcc_lo, v2, s0
	v_mul_f64 v[36:37], v[36:37], s[2:3]
	v_mul_f64 v[38:39], v[38:39], s[2:3]
	v_add_co_ci_u32_e32 v5, vcc_lo, s1, v3, vcc_lo
	global_store_b128 v[54:55], v[32:35], off
	global_store_b128 v[56:57], v[36:39], off
	;; [unrolled: 1-line block ×5, first 2 shown]
.LBB0_10:
	s_nop 0
	s_sendmsg sendmsg(MSG_DEALLOC_VGPRS)
	s_endpgm
	.section	.rodata,"a",@progbits
	.p2align	6, 0x0
	.amdhsa_kernel bluestein_single_back_len507_dim1_dp_op_CI_CI
		.amdhsa_group_segment_fixed_size 24336
		.amdhsa_private_segment_fixed_size 268
		.amdhsa_kernarg_size 104
		.amdhsa_user_sgpr_count 15
		.amdhsa_user_sgpr_dispatch_ptr 0
		.amdhsa_user_sgpr_queue_ptr 0
		.amdhsa_user_sgpr_kernarg_segment_ptr 1
		.amdhsa_user_sgpr_dispatch_id 0
		.amdhsa_user_sgpr_private_segment_size 0
		.amdhsa_wavefront_size32 1
		.amdhsa_uses_dynamic_stack 0
		.amdhsa_enable_private_segment 1
		.amdhsa_system_sgpr_workgroup_id_x 1
		.amdhsa_system_sgpr_workgroup_id_y 0
		.amdhsa_system_sgpr_workgroup_id_z 0
		.amdhsa_system_sgpr_workgroup_info 0
		.amdhsa_system_vgpr_workitem_id 0
		.amdhsa_next_free_vgpr 256
		.amdhsa_next_free_sgpr 46
		.amdhsa_reserve_vcc 1
		.amdhsa_float_round_mode_32 0
		.amdhsa_float_round_mode_16_64 0
		.amdhsa_float_denorm_mode_32 3
		.amdhsa_float_denorm_mode_16_64 3
		.amdhsa_dx10_clamp 1
		.amdhsa_ieee_mode 1
		.amdhsa_fp16_overflow 0
		.amdhsa_workgroup_processor_mode 1
		.amdhsa_memory_ordered 1
		.amdhsa_forward_progress 0
		.amdhsa_shared_vgpr_count 0
		.amdhsa_exception_fp_ieee_invalid_op 0
		.amdhsa_exception_fp_denorm_src 0
		.amdhsa_exception_fp_ieee_div_zero 0
		.amdhsa_exception_fp_ieee_overflow 0
		.amdhsa_exception_fp_ieee_underflow 0
		.amdhsa_exception_fp_ieee_inexact 0
		.amdhsa_exception_int_div_zero 0
	.end_amdhsa_kernel
	.text
.Lfunc_end0:
	.size	bluestein_single_back_len507_dim1_dp_op_CI_CI, .Lfunc_end0-bluestein_single_back_len507_dim1_dp_op_CI_CI
                                        ; -- End function
	.section	.AMDGPU.csdata,"",@progbits
; Kernel info:
; codeLenInByte = 23912
; NumSgprs: 48
; NumVgprs: 256
; ScratchSize: 268
; MemoryBound: 0
; FloatMode: 240
; IeeeMode: 1
; LDSByteSize: 24336 bytes/workgroup (compile time only)
; SGPRBlocks: 5
; VGPRBlocks: 31
; NumSGPRsForWavesPerEU: 48
; NumVGPRsForWavesPerEU: 256
; Occupancy: 5
; WaveLimiterHint : 1
; COMPUTE_PGM_RSRC2:SCRATCH_EN: 1
; COMPUTE_PGM_RSRC2:USER_SGPR: 15
; COMPUTE_PGM_RSRC2:TRAP_HANDLER: 0
; COMPUTE_PGM_RSRC2:TGID_X_EN: 1
; COMPUTE_PGM_RSRC2:TGID_Y_EN: 0
; COMPUTE_PGM_RSRC2:TGID_Z_EN: 0
; COMPUTE_PGM_RSRC2:TIDIG_COMP_CNT: 0
	.text
	.p2alignl 7, 3214868480
	.fill 96, 4, 3214868480
	.type	__hip_cuid_9f2d8b58c0d241e,@object ; @__hip_cuid_9f2d8b58c0d241e
	.section	.bss,"aw",@nobits
	.globl	__hip_cuid_9f2d8b58c0d241e
__hip_cuid_9f2d8b58c0d241e:
	.byte	0                               ; 0x0
	.size	__hip_cuid_9f2d8b58c0d241e, 1

	.ident	"AMD clang version 19.0.0git (https://github.com/RadeonOpenCompute/llvm-project roc-6.4.0 25133 c7fe45cf4b819c5991fe208aaa96edf142730f1d)"
	.section	".note.GNU-stack","",@progbits
	.addrsig
	.addrsig_sym __hip_cuid_9f2d8b58c0d241e
	.amdgpu_metadata
---
amdhsa.kernels:
  - .args:
      - .actual_access:  read_only
        .address_space:  global
        .offset:         0
        .size:           8
        .value_kind:     global_buffer
      - .actual_access:  read_only
        .address_space:  global
        .offset:         8
        .size:           8
        .value_kind:     global_buffer
      - .actual_access:  read_only
        .address_space:  global
        .offset:         16
        .size:           8
        .value_kind:     global_buffer
      - .actual_access:  read_only
        .address_space:  global
        .offset:         24
        .size:           8
        .value_kind:     global_buffer
      - .actual_access:  read_only
        .address_space:  global
        .offset:         32
        .size:           8
        .value_kind:     global_buffer
      - .offset:         40
        .size:           8
        .value_kind:     by_value
      - .address_space:  global
        .offset:         48
        .size:           8
        .value_kind:     global_buffer
      - .address_space:  global
        .offset:         56
        .size:           8
        .value_kind:     global_buffer
      - .address_space:  global
        .offset:         64
        .size:           8
        .value_kind:     global_buffer
      - .address_space:  global
        .offset:         72
        .size:           8
        .value_kind:     global_buffer
      - .offset:         80
        .size:           4
        .value_kind:     by_value
      - .address_space:  global
        .offset:         88
        .size:           8
        .value_kind:     global_buffer
      - .address_space:  global
        .offset:         96
        .size:           8
        .value_kind:     global_buffer
    .group_segment_fixed_size: 24336
    .kernarg_segment_align: 8
    .kernarg_segment_size: 104
    .language:       OpenCL C
    .language_version:
      - 2
      - 0
    .max_flat_workgroup_size: 117
    .name:           bluestein_single_back_len507_dim1_dp_op_CI_CI
    .private_segment_fixed_size: 268
    .sgpr_count:     48
    .sgpr_spill_count: 0
    .symbol:         bluestein_single_back_len507_dim1_dp_op_CI_CI.kd
    .uniform_work_group_size: 1
    .uses_dynamic_stack: false
    .vgpr_count:     256
    .vgpr_spill_count: 66
    .wavefront_size: 32
    .workgroup_processor_mode: 1
amdhsa.target:   amdgcn-amd-amdhsa--gfx1100
amdhsa.version:
  - 1
  - 2
...

	.end_amdgpu_metadata
